;; amdgpu-corpus repo=ROCm/aiter kind=harvested arch=n/a opt=n/a

/root/src/amdgpu-assembly/repos/ROCm__aiter/hsa/gfx950/fmoe_2stages/fmoe_stage1_bf16_pertokenFp8_g1u1_80x128_pf3.co:	file format elf64-amdgpu

Disassembly of section .text:

0000000000002a00 <_ZN5aiter44fmoe_stage1_bf16_pertokenFp8_g1u1_80x128_pf3E>:
	s_and_b32 s1, s1, 0xffff                                   // 000000002A00: 8601FF01 0000FFFF
	s_load_dwordx2 s[8:9], s[0:1], 0x0                         // 000000002A08: C0060200 00000000
	s_load_dwordx2 s[20:21], s[0:1], 0x10                      // 000000002A10: C0060500 00000010
	s_load_dwordx2 s[24:25], s[0:1], 0x20                      // 000000002A18: C0060600 00000020
	s_load_dwordx2 s[48:49], s[0:1], 0x30                      // 000000002A20: C0060C00 00000030
	s_load_dwordx2 s[28:29], s[0:1], 0x40                      // 000000002A28: C0060700 00000040
	s_load_dwordx2 s[32:33], s[0:1], 0x50                      // 000000002A30: C0060800 00000050
	s_load_dwordx2 s[36:37], s[0:1], 0x60                      // 000000002A38: C0060900 00000060
	s_load_dwordx2 s[12:13], s[0:1], 0x70                      // 000000002A40: C0060300 00000070
	s_load_dwordx2 s[44:45], s[0:1], 0x80                      // 000000002A48: C0060B00 00000080
	s_mov_b32 s89, 0                                           // 000000002A50: BED90080
	s_load_dword s64, s[0:1], 0x90                             // 000000002A54: C0021000 00000090
	s_load_dword s65, s[0:1], 0xa0                             // 000000002A5C: C0021040 000000A0
	s_load_dword s66, s[0:1], 0xb0                             // 000000002A64: C0021080 000000B0
	s_load_dword s67, s[0:1], 0xc0                             // 000000002A6C: C00210C0 000000C0
	s_load_dword s68, s[0:1], 0xd0                             // 000000002A74: C0021100 000000D0
	s_load_dword s69, s[0:1], 0xe0                             // 000000002A7C: C0021140 000000E0
	s_load_dword s71, s[0:1], 0xf0                             // 000000002A84: C00211C0 000000F0
	s_load_dword s72, s[0:1], 0x100                            // 000000002A8C: C0021200 00000100
	s_load_dword s74, s[0:1], 0x110                            // 000000002A94: C0021280 00000110
	s_load_dword s76, s[0:1], 0x120                            // 000000002A9C: C0021300 00000120
	s_load_dword s56, s[0:1], 0x130                            // 000000002AA4: C0020E00 00000130
	s_load_dword s88, s[0:1], 0x140                            // 000000002AAC: C0021600 00000140
	s_load_dword s89, s[0:1], 0x150                            // 000000002AB4: C0021640 00000150
	v_lshrrev_b32_e32 v1, 10, v0                               // 000000002ABC: 2002008A
	v_lshrrev_b32_e32 v2, 10, v1                               // 000000002AC0: 2004028A
	v_and_b32_e32 v2, 0x3ff, v2                                // 000000002AC4: 260404FF 000003FF
	v_and_b32_e32 v1, 0x3ff, v1                                // 000000002ACC: 260202FF 000003FF
	v_and_b32_e32 v0, 0x3ff, v0                                // 000000002AD4: 260000FF 000003FF
	v_lshrrev_b32_e32 v3, 6, v0                                // 000000002ADC: 20060086
	v_and_b32_e32 v0, 63, v0                                   // 000000002AE0: 260000BF
	s_mov_b32 s2, s2                                           // 000000002AE4: BE820002
	s_mov_b32 s3, s3                                           // 000000002AE8: BE830003
	s_mov_b32 s4, s4                                           // 000000002AEC: BE840004
	v_readfirstlane_b32 s7, v3                                 // 000000002AF0: 7E0E0503
	s_waitcnt lgkmcnt(0)                                       // 000000002AF4: BF8CC07F
	s_and_b32 s49, s49, 0xffff                                 // 000000002AF8: 8631FF31 0000FFFF
	s_load_dword s48, s[48:49], 0x0                            // 000000002B00: C0020C18 00000000
	s_and_b32 s45, s45, 0xffff                                 // 000000002B08: 862DFF2D 0000FFFF
	s_and_b32 s9, s9, 0xffff                                   // 000000002B10: 8609FF09 0000FFFF
	s_mul_i32 s60, s66, s68                                    // 000000002B18: 923C4442
	s_mul_i32 s61, s66, 4                                      // 000000002B1C: 923D8442
	s_mov_b32 s22, s60                                         // 000000002B20: BE96003C
	s_mov_b32 s26, -16                                         // 000000002B24: BE9A00D0
	s_mov_b32 s30, s61                                         // 000000002B28: BE9E003D
	s_mov_b32 s14, 0x140                                       // 000000002B2C: BE8E00FF 00000140
	s_mov_b32 s38, -16                                         // 000000002B34: BEA600D0
	s_mov_b32 s10, -16                                         // 000000002B38: BE8A00D0
	s_mov_b32 s34, 0x200                                       // 000000002B3C: BEA200FF 00000200
	s_mov_b32 s23, 0x20000                                     // 000000002B44: BE9700FF 00020000
	s_mov_b32 s27, 0x20000                                     // 000000002B4C: BE9B00FF 00020000
	s_mov_b32 s31, 0x20000                                     // 000000002B54: BE9F00FF 00020000
	s_mov_b32 s35, 0x20000                                     // 000000002B5C: BEA300FF 00020000
	s_mov_b32 s15, 0x20000                                     // 000000002B64: BE8F00FF 00020000
	s_mov_b32 s39, 0x20000                                     // 000000002B6C: BEA700FF 00020000
	s_mov_b32 s11, 0x20000                                     // 000000002B74: BE8B00FF 00020000
	s_and_b32 s21, s21, 0xffff                                 // 000000002B7C: 8615FF15 0000FFFF
	s_and_b32 s25, s25, 0xffff                                 // 000000002B84: 8619FF19 0000FFFF
	s_and_b32 s29, s29, 0xffff                                 // 000000002B8C: 861DFF1D 0000FFFF
	s_and_b32 s33, s33, 0xffff                                 // 000000002B94: 8621FF21 0000FFFF
	s_and_b32 s13, s13, 0xffff                                 // 000000002B9C: 860DFF0D 0000FFFF
	s_and_b32 s37, s37, 0xffff                                 // 000000002BA4: 8625FF25 0000FFFF
	s_or_b32 s21, s21, 0x40000                                 // 000000002BAC: 8715FF15 00040000
	s_or_b32 s25, s25, 0x40000                                 // 000000002BB4: 8719FF19 00040000
	s_or_b32 s29, s29, 0x40000                                 // 000000002BBC: 871DFF1D 00040000
	s_or_b32 s33, s33, 0x40000                                 // 000000002BC4: 8721FF21 00040000
	s_or_b32 s13, s13, 0x40000                                 // 000000002BCC: 870DFF0D 00040000
	s_or_b32 s37, s37, 0x40000                                 // 000000002BD4: 8725FF25 00040000
	v_accvgpr_write_b32 a127, 0                                // 000000002BDC: D3D9407F 18000080
	v_mov_b32_e32 v143, 0                                      // 000000002BE4: 7F1E0280
	s_waitcnt lgkmcnt(0)                                       // 000000002BE8: BF8CC07F
	s_mul_i32 s60, s3, 0x50                                    // 000000002BEC: 923CFF03 00000050
	s_cmp_lt_i32 s60, s48                                      // 000000002BF4: BF04303C
	s_cbranch_scc0 label_26D6                                  // 000000002BF8: BF842654
	s_mov_b32 s80, 0                                           // 000000002BFC: BED00080
	s_lshr_b32 s81, s64, s88                                   // 000000002C00: 8F515840
	s_mul_i32 s60, s3, 4                                       // 000000002C04: 923C8403
	s_add_u32 s44, s60, s44                                    // 000000002C08: 802C2C3C
	s_addc_u32 s45, 0, s45                                     // 000000002C0C: 822D2D80
	s_load_dword s5, s[44:45], 0x0                             // 000000002C10: C0020156 00000000
	s_mul_i32 s60, s3, 0x50                                    // 000000002C18: 923CFF03 00000050
	s_mul_i32 s60, 4, s60                                      // 000000002C20: 923C3C84
	s_add_u32 s12, s60, s12                                    // 000000002C24: 800C0C3C
	s_addc_u32 s13, 0, s13                                     // 000000002C28: 820D0D80
	v_and_b32_e32 v4, 15, v0                                   // 000000002C2C: 2608008F
	v_lshlrev_b32_e32 v4, 2, v4                                // 000000002C30: 24080882
	buffer_load_dword v30, v4, s[12:15], 0 offen               // 000000002C34: E0501000 80031E04
	v_add_u32_e32 v4, 64, v4                                   // 000000002C3C: 680808C0
	buffer_load_dword v31, v4, s[12:15], 0 offen               // 000000002C40: E0501000 80031F04
	v_add_u32_e32 v4, 64, v4                                   // 000000002C48: 680808C0
	buffer_load_dword v32, v4, s[12:15], 0 offen               // 000000002C4C: E0501000 80032004
	v_add_u32_e32 v4, 64, v4                                   // 000000002C54: 680808C0
	buffer_load_dword v33, v4, s[12:15], 0 offen               // 000000002C58: E0501000 80032104
	v_add_u32_e32 v4, 64, v4                                   // 000000002C60: 680808C0
	buffer_load_dword v34, v4, s[12:15], 0 offen               // 000000002C64: E0501000 80032204
	v_add_u32_e32 v4, 64, v4                                   // 000000002C6C: 680808C0
	s_mul_i32 s60, 4, s7                                       // 000000002C70: 923C0784
	v_lshlrev_b32_e32 v4, 4, v0                                // 000000002C74: 24080084
	v_add_u32_e32 v4, s60, v4                                  // 000000002C78: 6808083C
	buffer_load_dword v3, v4, s[12:15], 0 offen                // 000000002C7C: E0501000 80030304
	v_mov_b32_e32 v64, 0                                       // 000000002C84: 7E800280
	v_mov_b32_e32 v104, 0                                      // 000000002C88: 7ED00280
	v_mov_b32_e32 v65, 0                                       // 000000002C8C: 7E820280
	v_mov_b32_e32 v105, 0                                      // 000000002C90: 7ED20280
	v_mov_b32_e32 v66, 0                                       // 000000002C94: 7E840280
	v_mov_b32_e32 v106, 0                                      // 000000002C98: 7ED40280
	v_mov_b32_e32 v67, 0                                       // 000000002C9C: 7E860280
	v_mov_b32_e32 v107, 0                                      // 000000002CA0: 7ED60280
	v_mov_b32_e32 v68, 0                                       // 000000002CA4: 7E880280
	v_mov_b32_e32 v108, 0                                      // 000000002CA8: 7ED80280
	v_mov_b32_e32 v69, 0                                       // 000000002CAC: 7E8A0280
	v_mov_b32_e32 v109, 0                                      // 000000002CB0: 7EDA0280
	v_mov_b32_e32 v70, 0                                       // 000000002CB4: 7E8C0280
	v_mov_b32_e32 v110, 0                                      // 000000002CB8: 7EDC0280
	v_mov_b32_e32 v71, 0                                       // 000000002CBC: 7E8E0280
	v_mov_b32_e32 v111, 0                                      // 000000002CC0: 7EDE0280
	v_mov_b32_e32 v72, 0                                       // 000000002CC4: 7E900280
	v_mov_b32_e32 v112, 0                                      // 000000002CC8: 7EE00280
	v_mov_b32_e32 v73, 0                                       // 000000002CCC: 7E920280
	v_mov_b32_e32 v113, 0                                      // 000000002CD0: 7EE20280
	v_mov_b32_e32 v74, 0                                       // 000000002CD4: 7E940280
	v_mov_b32_e32 v114, 0                                      // 000000002CD8: 7EE40280
	v_mov_b32_e32 v75, 0                                       // 000000002CDC: 7E960280
	v_mov_b32_e32 v115, 0                                      // 000000002CE0: 7EE60280
	v_mov_b32_e32 v76, 0                                       // 000000002CE4: 7E980280
	v_mov_b32_e32 v116, 0                                      // 000000002CE8: 7EE80280
	v_mov_b32_e32 v77, 0                                       // 000000002CEC: 7E9A0280
	v_mov_b32_e32 v117, 0                                      // 000000002CF0: 7EEA0280
	v_mov_b32_e32 v78, 0                                       // 000000002CF4: 7E9C0280
	v_mov_b32_e32 v118, 0                                      // 000000002CF8: 7EEC0280
	v_mov_b32_e32 v79, 0                                       // 000000002CFC: 7E9E0280
	v_mov_b32_e32 v119, 0                                      // 000000002D00: 7EEE0280
	v_mov_b32_e32 v80, 0                                       // 000000002D04: 7EA00280
	v_mov_b32_e32 v120, 0                                      // 000000002D08: 7EF00280
	v_mov_b32_e32 v81, 0                                       // 000000002D0C: 7EA20280
	v_mov_b32_e32 v121, 0                                      // 000000002D10: 7EF20280
	v_mov_b32_e32 v82, 0                                       // 000000002D14: 7EA40280
	v_mov_b32_e32 v122, 0                                      // 000000002D18: 7EF40280
	v_mov_b32_e32 v83, 0                                       // 000000002D1C: 7EA60280
	v_mov_b32_e32 v123, 0                                      // 000000002D20: 7EF60280
	v_mov_b32_e32 v84, 0                                       // 000000002D24: 7EA80280
	v_mov_b32_e32 v124, 0                                      // 000000002D28: 7EF80280
	v_mov_b32_e32 v85, 0                                       // 000000002D2C: 7EAA0280
	v_mov_b32_e32 v125, 0                                      // 000000002D30: 7EFA0280
	v_mov_b32_e32 v86, 0                                       // 000000002D34: 7EAC0280
	v_mov_b32_e32 v126, 0                                      // 000000002D38: 7EFC0280
	v_mov_b32_e32 v87, 0                                       // 000000002D3C: 7EAE0280
	v_mov_b32_e32 v127, 0                                      // 000000002D40: 7EFE0280
	v_mov_b32_e32 v88, 0                                       // 000000002D44: 7EB00280
	v_mov_b32_e32 v128, 0                                      // 000000002D48: 7F000280
	v_mov_b32_e32 v89, 0                                       // 000000002D4C: 7EB20280
	v_mov_b32_e32 v129, 0                                      // 000000002D50: 7F020280
	v_mov_b32_e32 v90, 0                                       // 000000002D54: 7EB40280
	v_mov_b32_e32 v130, 0                                      // 000000002D58: 7F040280
	v_mov_b32_e32 v91, 0                                       // 000000002D5C: 7EB60280
	v_mov_b32_e32 v131, 0                                      // 000000002D60: 7F060280
	v_mov_b32_e32 v92, 0                                       // 000000002D64: 7EB80280
	v_mov_b32_e32 v132, 0                                      // 000000002D68: 7F080280
	v_mov_b32_e32 v93, 0                                       // 000000002D6C: 7EBA0280
	v_mov_b32_e32 v133, 0                                      // 000000002D70: 7F0A0280
	v_mov_b32_e32 v94, 0                                       // 000000002D74: 7EBC0280
	v_mov_b32_e32 v134, 0                                      // 000000002D78: 7F0C0280
	v_mov_b32_e32 v95, 0                                       // 000000002D7C: 7EBE0280
	v_mov_b32_e32 v135, 0                                      // 000000002D80: 7F0E0280
	v_mov_b32_e32 v96, 0                                       // 000000002D84: 7EC00280
	v_mov_b32_e32 v136, 0                                      // 000000002D88: 7F100280
	v_mov_b32_e32 v97, 0                                       // 000000002D8C: 7EC20280
	v_mov_b32_e32 v137, 0                                      // 000000002D90: 7F120280
	v_mov_b32_e32 v98, 0                                       // 000000002D94: 7EC40280
	v_mov_b32_e32 v138, 0                                      // 000000002D98: 7F140280
	v_mov_b32_e32 v99, 0                                       // 000000002D9C: 7EC60280
	v_mov_b32_e32 v139, 0                                      // 000000002DA0: 7F160280
	v_mov_b32_e32 v100, 0                                      // 000000002DA4: 7EC80280
	v_mov_b32_e32 v140, 0                                      // 000000002DA8: 7F180280
	v_mov_b32_e32 v101, 0                                      // 000000002DAC: 7ECA0280
	v_mov_b32_e32 v141, 0                                      // 000000002DB0: 7F1A0280
	v_mov_b32_e32 v102, 0                                      // 000000002DB4: 7ECC0280
	v_mov_b32_e32 v142, 0                                      // 000000002DB8: 7F1C0280
	v_mov_b32_e32 v103, 0                                      // 000000002DBC: 7ECE0280
	v_mov_b32_e32 v143, 0                                      // 000000002DC0: 7F1E0280
	s_mul_i32 s60, s2, 0x100                                   // 000000002DC4: 923CFF02 00000100
	s_cmp_eq_u32 s88, 0                                        // 000000002DCC: BF068058
	s_cselect_b32 s61, 1, 2                                    // 000000002DD0: 853D8281
	s_mul_i32 s60, s60, s61                                    // 000000002DD4: 923C3D3C
	s_mov_b32 s90, s8                                          // 000000002DD8: BEDA0008
	s_mov_b32 s91, s9                                          // 000000002DDC: BEDB0009
	s_add_u32 s8, s60, s8                                      // 000000002DE0: 8008083C
	s_addc_u32 s9, 0, s9                                       // 000000002DE4: 82090980
	v_lshrrev_b32_e32 v4, 4, v0                                // 000000002DE8: 20080084
	v_mul_lo_u32 v20, 34, v4                                   // 000000002DEC: D2850014 000208A2
	v_and_b32_e32 v4, 15, v0                                   // 000000002DF4: 2608008F
	v_mul_lo_u32 v5, 2, v4                                     // 000000002DF8: D2850005 00020882
	v_add_u32_e32 v20, v5, v20                                 // 000000002E00: 68282905
	s_mul_i32 s60, s7, 0x88                                    // 000000002E04: 923CFF07 00000088
	v_add_u32_e32 v20, s60, v20                                // 000000002E0C: 6828283C
	v_lshlrev_b32_e32 v20, 2, v20                              // 000000002E10: 24282882
	v_and_b32_e32 v4, 31, v0                                   // 000000002E14: 2608009F
	v_lshrrev_b32_e32 v4, 1, v4                                // 000000002E18: 20080881
	v_mul_lo_u32 v21, 34, v4                                   // 000000002E1C: D2850015 000208A2
	v_lshrrev_b32_e32 v4, 5, v0                                // 000000002E24: 20080085
	v_mul_lo_u32 v4, 8, v4                                     // 000000002E28: D2850004 00020888
	v_add_u32_e32 v21, v21, v4                                 // 000000002E30: 682A0915
	v_and_b32_e32 v5, 1, v0                                    // 000000002E34: 260A0081
	v_add_u32_e32 v21, v5, v21                                 // 000000002E38: 682A2B05
	s_mul_i32 s60, s7, 2                                       // 000000002E3C: 923C8207
	v_add_u32_e32 v21, s60, v21                                // 000000002E40: 682A2A3C
	v_lshlrev_b32_e32 v21, 2, v21                              // 000000002E44: 242A2A82
	s_mul_i32 s60, s7, 0xa20                                   // 000000002E48: 923CFF07 00000A20
	s_add_u32 s48, 0, s60                                      // 000000002E50: 80303C80
	s_add_u32 s49, 0x2880, s48                                 // 000000002E54: 803130FF 00002880
	s_add_u32 s50, 0x2880, s49                                 // 000000002E5C: 803231FF 00002880
	v_lshrrev_b32_e32 v4, 4, v0                                // 000000002E64: 20080084
	v_lshlrev_b32_e32 v5, 2, v4                                // 000000002E68: 240A0882
	v_and_b32_e32 v4, 15, v0                                   // 000000002E6C: 2608008F
	v_lshrrev_b32_e32 v6, 2, v4                                // 000000002E70: 200C0882
	v_lshlrev_b32_e32 v6, 5, v6                                // 000000002E74: 240C0C85
	v_add_u32_e32 v5, v6, v5                                   // 000000002E78: 680A0B06
	v_and_b32_e32 v4, 3, v0                                    // 000000002E7C: 26080083
	v_mul_u32_u24_e32 v6, 0x288, v4                            // 000000002E80: 100C08FF 00000288
	v_add_u32_e32 v5, v6, v5                                   // 000000002E88: 680A0B06
	v_lshlrev_b32_e32 v2, 2, v5                                // 000000002E8C: 24040A82
	s_waitcnt lgkmcnt(0)                                       // 000000002E90: BF8CC07F
	s_mul_i32 s60, s2, 0x80                                    // 000000002E94: 923CFF02 00000080
	s_mul_i32 s60, s60, s69                                    // 000000002E9C: 923C453C
	s_mul_i32 s61, s5, s72                                     // 000000002EA0: 923D4805
	s_add_u32 s60, s61, s60                                    // 000000002EA4: 803C3C3D
	s_add_u32 s24, s60, s24                                    // 000000002EA8: 8018183C
	s_addc_u32 s25, 0, s25                                     // 000000002EAC: 82191980
	s_lshr_b32 s60, s64, s88                                   // 000000002EB0: 8F3C5840
	s_mul_i32 s60, s4, s60                                     // 000000002EB4: 923C3C04
	s_lshr_b32 s60, s60, 7                                     // 000000002EB8: 8F3C873C
	s_mul_i32 s60, s60, 0x800                                  // 000000002EBC: 923CFF3C 00000800
	s_add_u32 s24, s60, s24                                    // 000000002EC4: 8018183C
	s_addc_u32 s25, 0, s25                                     // 000000002EC8: 82191980
	s_lshr_b32 s60, s69, s88                                   // 000000002ECC: 8F3C5845
	s_mul_i32 s60, s4, s60                                     // 000000002ED0: 923C3C04
	s_add_u32 s20, s60, s20                                    // 000000002ED4: 8014143C
	s_addc_u32 s21, 0, s21                                     // 000000002ED8: 82151580
	s_mul_i32 s60, s7, 16                                      // 000000002EDC: 923C9007
	s_mul_i32 s60, s60, s69                                    // 000000002EE0: 923C453C
	v_lshlrev_b32_e32 v60, 4, v0                               // 000000002EE4: 24780084
	v_add_u32_e32 v60, s60, v60                                // 000000002EE8: 6878783C
	s_mul_i32 s60, 64, s69                                     // 000000002EEC: 923C45C0
	v_add_u32_e32 v61, s60, v60                                // 000000002EF0: 687A783C
	s_mov_b32 s84, s24                                         // 000000002EF4: BED40018
	s_mov_b32 s85, s25                                         // 000000002EF8: BED50019
	s_mov_b32 s86, s26                                         // 000000002EFC: BED6001A
	s_mov_b32 s87, s27                                         // 000000002F00: BED7001B
	s_mul_i32 s60, s69, s65                                    // 000000002F04: 923C4145
	s_add_u32 s84, s60, s84                                    // 000000002F08: 8054543C
	s_addc_u32 s85, 0, s85                                     // 000000002F0C: 82555580
	v_lshrrev_b32_e32 v4, 4, v0                                // 000000002F10: 20080084
	v_lshlrev_b32_e32 v5, 2, v4                                // 000000002F14: 240A0882
	v_and_b32_e32 v4, 15, v0                                   // 000000002F18: 2608008F
	v_lshrrev_b32_e32 v6, 2, v4                                // 000000002F1C: 200C0882
	v_lshlrev_b32_e32 v6, 6, v6                                // 000000002F20: 240C0C86
	v_add_u32_e32 v5, v6, v5                                   // 000000002F24: 680A0B06
	v_and_b32_e32 v4, 3, v0                                    // 000000002F28: 26080083
	v_add_u32_e32 v5, v4, v5                                   // 000000002F2C: 680A0B04
	v_lshlrev_b32_e32 v22, 2, v5                               // 000000002F30: 242C0A82
	s_mul_i32 s60, s7, 16                                      // 000000002F34: 923C9007
	s_mul_i32 s60, s60, 4                                      // 000000002F38: 923C843C
	v_add_u32_e32 v22, s60, v22                                // 000000002F3C: 682C2C3C
	s_mul_i32 s60, s2, 0x80                                    // 000000002F40: 923CFF02 00000080
	s_mul_i32 s60, s60, 4                                      // 000000002F48: 923C843C
	s_mul_i32 s61, s5, s74                                     // 000000002F4C: 923D4A05
	s_add_u32 s61, s61, s60                                    // 000000002F50: 803D3C3D
	s_add_u32 s32, s61, s32                                    // 000000002F54: 8020203D
	s_addc_u32 s33, 0, s33                                     // 000000002F58: 82212180
	s_mov_b32 s57, 0x80                                        // 000000002F5C: BEB900FF 00000080
	s_mov_b32 s58, 0x800                                       // 000000002F64: BEBA00FF 00000800
	s_mov_b32 s83, s58                                         // 000000002F6C: BED3003A
	s_mov_b32 s52, 0x7060302                                   // 000000002F70: BEB400FF 07060302
	s_mov_b32 s53, 0x400                                       // 000000002F78: BEB500FF 00000400
	s_mov_b32 s54, 0x40100                                     // 000000002F80: BEB600FF 00040100
	s_mov_b32 s55, 0x4020100                                   // 000000002F88: BEB700FF 04020100
	s_mov_b32 s6, 0x3fb8aa3b                                   // 000000002F90: BE8600FF 3FB8AA3B
	s_mov_b32 s78, 0xbd92220c                                  // 000000002F98: BECE00FF BD92220C
	s_mov_b32 s79, 0xbd92220c                                  // 000000002FA0: BECF00FF BD92220C
	s_mov_b32 m0, s48                                          // 000000002FA8: BEFC0030
	v_mov_b32_e32 v1, 0xbfcc4231                               // 000000002FAC: 7E0202FF BFCC4231
	v_mov_b32_e32 v17, 0xffff0000                              // 000000002FB4: 7E2202FF FFFF0000
	v_mov_b32_e32 v18, 0x7fff0000                              // 000000002FBC: 7E2402FF 7FFF0000
	v_mov_b32_e32 v19, 0x7fff                                  // 000000002FC4: 7E2602FF 00007FFF
	s_waitcnt vmcnt(0) expcnt(0) lgkmcnt(0)                    // 000000002FCC: BF8C0000
	v_lshrrev_b32_e32 v4, 5, v0                                // 000000002FD0: 20080085
	v_xor_b32_e32 v5, 1, v4                                    // 000000002FD4: 2A0A0881
	v_readlane_b32 s82, v3, 0                                  // 000000002FD8: D2890052 00010103
	s_and_b32 s82, s82, 0xffffff                               // 000000002FE0: 8652FF52 00FFFFFF
	v_mul_lo_u32 v6, v5, s82                                   // 000000002FE8: D2850006 0000A505
	v_readlane_b32 s82, v3, 1                                  // 000000002FF0: D2890052 00010303
	s_and_b32 s82, s82, 0xffffff                               // 000000002FF8: 8652FF52 00FFFFFF
	v_mul_lo_u32 v7, v4, s82                                   // 000000003000: D2850007 0000A504
	v_add_u32_e32 v50, v6, v7                                  // 000000003008: 68640F06
	v_mul_lo_u32 v50, v50, s68                                 // 00000000300C: D2850032 00008932
	v_readlane_b32 s82, v3, 2                                  // 000000003014: D2890052 00010503
	s_and_b32 s82, s82, 0xffffff                               // 00000000301C: 8652FF52 00FFFFFF
	v_mul_lo_u32 v6, v5, s82                                   // 000000003024: D2850006 0000A505
	v_readlane_b32 s82, v3, 3                                  // 00000000302C: D2890052 00010703
	s_and_b32 s82, s82, 0xffffff                               // 000000003034: 8652FF52 00FFFFFF
	v_mul_lo_u32 v7, v4, s82                                   // 00000000303C: D2850007 0000A504
	v_add_u32_e32 v51, v6, v7                                  // 000000003044: 68660F06
	v_mul_lo_u32 v51, v51, s68                                 // 000000003048: D2850033 00008933
	v_readlane_b32 s82, v3, 4                                  // 000000003050: D2890052 00010903
	s_and_b32 s82, s82, 0xffffff                               // 000000003058: 8652FF52 00FFFFFF
	v_mul_lo_u32 v6, v5, s82                                   // 000000003060: D2850006 0000A505
	v_readlane_b32 s82, v3, 5                                  // 000000003068: D2890052 00010B03
	s_and_b32 s82, s82, 0xffffff                               // 000000003070: 8652FF52 00FFFFFF
	v_mul_lo_u32 v7, v4, s82                                   // 000000003078: D2850007 0000A504
	v_add_u32_e32 v52, v6, v7                                  // 000000003080: 68680F06
	v_mul_lo_u32 v52, v52, s68                                 // 000000003084: D2850034 00008934
	v_readlane_b32 s82, v3, 6                                  // 00000000308C: D2890052 00010D03
	s_and_b32 s82, s82, 0xffffff                               // 000000003094: 8652FF52 00FFFFFF
	v_mul_lo_u32 v6, v5, s82                                   // 00000000309C: D2850006 0000A505
	v_readlane_b32 s82, v3, 7                                  // 0000000030A4: D2890052 00010F03
	s_and_b32 s82, s82, 0xffffff                               // 0000000030AC: 8652FF52 00FFFFFF
	v_mul_lo_u32 v7, v4, s82                                   // 0000000030B4: D2850007 0000A504
	v_add_u32_e32 v53, v6, v7                                  // 0000000030BC: 686A0F06
	v_mul_lo_u32 v53, v53, s68                                 // 0000000030C0: D2850035 00008935
	v_readlane_b32 s82, v3, 8                                  // 0000000030C8: D2890052 00011103
	s_and_b32 s82, s82, 0xffffff                               // 0000000030D0: 8652FF52 00FFFFFF
	v_mul_lo_u32 v6, v5, s82                                   // 0000000030D8: D2850006 0000A505
	v_readlane_b32 s82, v3, 9                                  // 0000000030E0: D2890052 00011303
	s_and_b32 s82, s82, 0xffffff                               // 0000000030E8: 8652FF52 00FFFFFF
	v_mul_lo_u32 v7, v4, s82                                   // 0000000030F0: D2850007 0000A504
	v_add_u32_e32 v54, v6, v7                                  // 0000000030F8: 686C0F06
	v_mul_lo_u32 v54, v54, s68                                 // 0000000030FC: D2850036 00008936
	v_readlane_b32 s82, v3, 10                                 // 000000003104: D2890052 00011503
	s_and_b32 s82, s82, 0xffffff                               // 00000000310C: 8652FF52 00FFFFFF
	v_mul_lo_u32 v6, v5, s82                                   // 000000003114: D2850006 0000A505
	v_readlane_b32 s82, v3, 11                                 // 00000000311C: D2890052 00011703
	s_and_b32 s82, s82, 0xffffff                               // 000000003124: 8652FF52 00FFFFFF
	v_mul_lo_u32 v7, v4, s82                                   // 00000000312C: D2850007 0000A504
	v_add_u32_e32 v55, v6, v7                                  // 000000003134: 686E0F06
	v_mul_lo_u32 v55, v55, s68                                 // 000000003138: D2850037 00008937
	v_readlane_b32 s82, v3, 12                                 // 000000003140: D2890052 00011903
	s_and_b32 s82, s82, 0xffffff                               // 000000003148: 8652FF52 00FFFFFF
	v_mul_lo_u32 v6, v5, s82                                   // 000000003150: D2850006 0000A505
	v_readlane_b32 s82, v3, 13                                 // 000000003158: D2890052 00011B03
	s_and_b32 s82, s82, 0xffffff                               // 000000003160: 8652FF52 00FFFFFF
	v_mul_lo_u32 v7, v4, s82                                   // 000000003168: D2850007 0000A504
	v_add_u32_e32 v56, v6, v7                                  // 000000003170: 68700F06
	v_mul_lo_u32 v56, v56, s68                                 // 000000003174: D2850038 00008938
	v_readlane_b32 s82, v3, 14                                 // 00000000317C: D2890052 00011D03
	s_and_b32 s82, s82, 0xffffff                               // 000000003184: 8652FF52 00FFFFFF
	v_mul_lo_u32 v6, v5, s82                                   // 00000000318C: D2850006 0000A505
	v_readlane_b32 s82, v3, 15                                 // 000000003194: D2890052 00011F03
	s_and_b32 s82, s82, 0xffffff                               // 00000000319C: 8652FF52 00FFFFFF
	v_mul_lo_u32 v7, v4, s82                                   // 0000000031A4: D2850007 0000A504
	v_add_u32_e32 v57, v6, v7                                  // 0000000031AC: 68720F06
	v_mul_lo_u32 v57, v57, s68                                 // 0000000031B0: D2850039 00008939
	v_readlane_b32 s82, v3, 16                                 // 0000000031B8: D2890052 00012103
	s_and_b32 s82, s82, 0xffffff                               // 0000000031C0: 8652FF52 00FFFFFF
	v_mul_lo_u32 v6, v5, s82                                   // 0000000031C8: D2850006 0000A505
	v_readlane_b32 s82, v3, 17                                 // 0000000031D0: D2890052 00012303
	s_and_b32 s82, s82, 0xffffff                               // 0000000031D8: 8652FF52 00FFFFFF
	v_mul_lo_u32 v7, v4, s82                                   // 0000000031E0: D2850007 0000A504
	v_add_u32_e32 v58, v6, v7                                  // 0000000031E8: 68740F06
	v_mul_lo_u32 v58, v58, s68                                 // 0000000031EC: D285003A 0000893A
	v_readlane_b32 s82, v3, 18                                 // 0000000031F4: D2890052 00012503
	s_and_b32 s82, s82, 0xffffff                               // 0000000031FC: 8652FF52 00FFFFFF
	v_mul_lo_u32 v6, v5, s82                                   // 000000003204: D2850006 0000A505
	v_readlane_b32 s82, v3, 19                                 // 00000000320C: D2890052 00012703
	s_and_b32 s82, s82, 0xffffff                               // 000000003214: 8652FF52 00FFFFFF
	v_mul_lo_u32 v7, v4, s82                                   // 00000000321C: D2850007 0000A504
	v_add_u32_e32 v59, v6, v7                                  // 000000003224: 68760F06
	v_mul_lo_u32 v59, v59, s68                                 // 000000003228: D285003B 0000893B
	v_and_b32_e32 v4, 31, v0                                   // 000000003230: 2608009F
	v_lshlrev_b32_e32 v4, 2, v4                                // 000000003234: 24080882
	v_add_u32_e32 v50, v50, v4                                 // 000000003238: 68640932
	v_add_u32_e32 v51, v51, v4                                 // 00000000323C: 68660933
	v_add_u32_e32 v52, v52, v4                                 // 000000003240: 68680934
	v_add_u32_e32 v53, v53, v4                                 // 000000003244: 686A0935
	v_add_u32_e32 v54, v54, v4                                 // 000000003248: 686C0936
	v_add_u32_e32 v55, v55, v4                                 // 00000000324C: 686E0937
	v_add_u32_e32 v56, v56, v4                                 // 000000003250: 68700938
	v_add_u32_e32 v57, v57, v4                                 // 000000003254: 68720939
	v_add_u32_e32 v58, v58, v4                                 // 000000003258: 6874093A
	v_add_u32_e32 v59, v59, v4                                 // 00000000325C: 6876093B
	v_and_b32_e32 v30, 0xffffff, v30                           // 000000003260: 263C3CFF 00FFFFFF
	v_lshlrev_b32_e32 v30, 2, v30                              // 000000003268: 243C3C82
	v_and_b32_e32 v31, 0xffffff, v31                           // 00000000326C: 263E3EFF 00FFFFFF
	v_lshlrev_b32_e32 v31, 2, v31                              // 000000003274: 243E3E82
	v_and_b32_e32 v32, 0xffffff, v32                           // 000000003278: 264040FF 00FFFFFF
	v_lshlrev_b32_e32 v32, 2, v32                              // 000000003280: 24404082
	v_and_b32_e32 v33, 0xffffff, v33                           // 000000003284: 264242FF 00FFFFFF
	v_lshlrev_b32_e32 v33, 2, v33                              // 00000000328C: 24424282
	v_and_b32_e32 v34, 0xffffff, v34                           // 000000003290: 264444FF 00FFFFFF
	v_lshlrev_b32_e32 v34, 2, v34                              // 000000003298: 24444482
	s_lshl_b32 s3, s66, 2                                      // 00000000329C: 8E038242
	buffer_load_dword v35, v30, s[28:31], 0 offen              // 0000000032A0: E0501000 8007231E
	buffer_load_dword v36, v31, s[28:31], 0 offen              // 0000000032A8: E0501000 8007241F
	buffer_load_dword v37, v32, s[28:31], 0 offen              // 0000000032B0: E0501000 80072520
	buffer_load_dword v38, v33, s[28:31], 0 offen              // 0000000032B8: E0501000 80072621
	buffer_load_dword v39, v34, s[28:31], 0 offen              // 0000000032C0: E0501000 80072722
	buffer_load_dword v24, v22, s[32:35], 0 offen              // 0000000032C8: E0501000 80081816
	s_mul_i32 s60, 4, s65                                      // 0000000032D0: 923C4184
	s_add_u32 s32, s60, s32                                    // 0000000032D4: 8020203C
	s_addc_u32 s33, 0, s33                                     // 0000000032D8: 82212180
	buffer_load_dword v27, v22, s[32:35], 0 offen              // 0000000032DC: E0501000 80081B16
	buffer_load_dword v50, s[20:23], 0 offen lds               // 0000000032E4: E0511000 80050032
	s_add_u32 m0, 0x100, s48                                   // 0000000032EC: 807C30FF 00000100
	buffer_load_dword v51, s[20:23], 0 offen lds               // 0000000032F4: E0511000 80050033
	s_add_u32 m0, 0x200, s48                                   // 0000000032FC: 807C30FF 00000200
	buffer_load_dword v52, s[20:23], 0 offen lds               // 000000003304: E0511000 80050034
	s_add_u32 m0, 0x300, s48                                   // 00000000330C: 807C30FF 00000300
	buffer_load_dword v53, s[20:23], 0 offen lds               // 000000003314: E0511000 80050035
	s_add_u32 m0, 0x400, s48                                   // 00000000331C: 807C30FF 00000400
	buffer_load_dword v54, s[20:23], 0 offen lds               // 000000003324: E0511000 80050036
	s_add_u32 m0, 0x500, s48                                   // 00000000332C: 807C30FF 00000500
	buffer_load_dword v55, s[20:23], 0 offen lds               // 000000003334: E0511000 80050037
	s_add_u32 m0, 0x600, s48                                   // 00000000333C: 807C30FF 00000600
	buffer_load_dword v56, s[20:23], 0 offen lds               // 000000003344: E0511000 80050038
	s_add_u32 m0, 0x700, s48                                   // 00000000334C: 807C30FF 00000700
	buffer_load_dword v57, s[20:23], 0 offen lds               // 000000003354: E0511000 80050039
	s_add_u32 m0, 0x800, s48                                   // 00000000335C: 807C30FF 00000800
	buffer_load_dword v58, s[20:23], 0 offen lds               // 000000003364: E0511000 8005003A
	s_add_u32 m0, 0x900, s48                                   // 00000000336C: 807C30FF 00000900
	buffer_load_dword v59, s[20:23], 0 offen lds               // 000000003374: E0511000 8005003B
	s_add_u32 m0, 0, s49                                       // 00000000337C: 807C3180
	s_add_u32 s20, s57, s20                                    // 000000003380: 80141439
	s_addc_u32 s21, 0, s21                                     // 000000003384: 82151580
	buffer_load_dwordx4 a[80:83], v60, s[24:27], 0 offen       // 000000003388: E05C1000 8086503C
	buffer_load_dwordx4 a[84:87], v60, s[24:27], 0 offen offset:1024// 000000003390: E05C1400 8086543C
	buffer_load_dwordx4 a[88:91], v61, s[24:27], 0 offen       // 000000003398: E05C1000 8086583D
	buffer_load_dwordx4 a[92:95], v61, s[24:27], 0 offen offset:1024// 0000000033A0: E05C1400 80865C3D
	s_add_u32 s24, s58, s24                                    // 0000000033A8: 8018183A
	s_addc_u32 s25, 0, s25                                     // 0000000033AC: 82191980
	buffer_load_dword v50, s[20:23], 0 offen lds               // 0000000033B0: E0511000 80050032
	s_add_u32 m0, 0x100, s49                                   // 0000000033B8: 807C31FF 00000100
	buffer_load_dword v51, s[20:23], 0 offen lds               // 0000000033C0: E0511000 80050033
	s_add_u32 m0, 0x200, s49                                   // 0000000033C8: 807C31FF 00000200
	buffer_load_dword v52, s[20:23], 0 offen lds               // 0000000033D0: E0511000 80050034
	s_add_u32 m0, 0x300, s49                                   // 0000000033D8: 807C31FF 00000300
	buffer_load_dword v53, s[20:23], 0 offen lds               // 0000000033E0: E0511000 80050035
	s_add_u32 m0, 0x400, s49                                   // 0000000033E8: 807C31FF 00000400
	buffer_load_dword v54, s[20:23], 0 offen lds               // 0000000033F0: E0511000 80050036
	s_add_u32 m0, 0x500, s49                                   // 0000000033F8: 807C31FF 00000500
	buffer_load_dword v55, s[20:23], 0 offen lds               // 000000003400: E0511000 80050037
	s_add_u32 m0, 0x600, s49                                   // 000000003408: 807C31FF 00000600
	buffer_load_dword v56, s[20:23], 0 offen lds               // 000000003410: E0511000 80050038
	s_add_u32 m0, 0x700, s49                                   // 000000003418: 807C31FF 00000700
	;; [unrolled: 2-line block ×3, first 2 shown]
	buffer_load_dword v58, s[20:23], 0 offen lds               // 000000003430: E0511000 8005003A
	s_add_u32 m0, 0x900, s49                                   // 000000003438: 807C31FF 00000900
	buffer_load_dword v59, s[20:23], 0 offen lds               // 000000003440: E0511000 8005003B
	s_add_u32 m0, 0, s50                                       // 000000003448: 807C3280
	s_add_u32 s20, s57, s20                                    // 00000000344C: 80141439
	s_addc_u32 s21, 0, s21                                     // 000000003450: 82151580
	buffer_load_dwordx4 a[96:99], v60, s[84:87], 0 offen       // 000000003454: E05C1000 8095603C
	buffer_load_dwordx4 a[100:103], v60, s[84:87], 0 offen offset:1024// 00000000345C: E05C1400 8095643C
	buffer_load_dwordx4 a[104:107], v61, s[84:87], 0 offen     // 000000003464: E05C1000 8095683D
	buffer_load_dwordx4 a[108:111], v61, s[84:87], 0 offen offset:1024// 00000000346C: E05C1400 80956C3D
	s_add_u32 s84, s83, s84                                    // 000000003474: 80545453
	s_addc_u32 s85, 0, s85                                     // 000000003478: 82555580
	s_waitcnt vmcnt(18)                                        // 00000000347C: BF8C4F72
	s_barrier                                                  // 000000003480: BF8A0000
	ds_read_b128 a[0:3], v2                                    // 000000003484: DBFE0000 00000002
	ds_read_b128 a[4:7], v2 offset:64                          // 00000000348C: DBFE0040 04000002
	ds_read_b128 a[8:11], v2 offset:512                        // 000000003494: DBFE0200 08000002
	ds_read_b128 a[12:15], v2 offset:576                       // 00000000349C: DBFE0240 0C000002
	ds_read_b128 a[16:19], v2 offset:1024                      // 0000000034A4: DBFE0400 10000002
	ds_read_b128 a[20:23], v2 offset:1088                      // 0000000034AC: DBFE0440 14000002
	ds_read_b128 a[24:27], v2 offset:1536                      // 0000000034B4: DBFE0600 18000002
	ds_read_b128 a[28:31], v2 offset:1600                      // 0000000034BC: DBFE0640 1C000002
	ds_read_b128 a[32:35], v2 offset:2048                      // 0000000034C4: DBFE0800 20000002
	ds_read_b128 a[36:39], v2 offset:2112                      // 0000000034CC: DBFE0840 24000002
	s_cmp_lt_i32 s7, 2                                         // 0000000034D4: BF048207
	s_cbranch_scc0 label_14C8                                  // 0000000034D8: BF84120E

00000000000034dc <label_02B7>:
	s_waitcnt vmcnt(14) lgkmcnt(0)                             // 0000000034DC: BF8C007E
	v_mfma_f32_16x16x32_fp8_fp8 v[64:67], a[80:81], a[0:1], v[64:67]// 0000000034E0: D3F30040 1D020150
	v_mfma_f32_16x16x32_fp8_fp8 v[64:67], a[82:83], a[2:3], v[64:67]// 0000000034E8: D3F30040 1D020552
	buffer_load_dwordx4 a[112:115], v60, s[24:27], 0 offen     // 0000000034F0: E05C1000 8086703C
	v_mfma_f32_16x16x32_fp8_fp8 v[64:67], a[84:85], a[4:5], v[64:67]// 0000000034F8: D3F30040 1D020954
	v_mfma_f32_16x16x32_fp8_fp8 v[64:67], a[86:87], a[6:7], v[64:67]// 000000003500: D3F30040 1D020D56
	v_mfma_f32_16x16x32_fp8_fp8 v[84:87], a[88:89], a[0:1], v[84:87]// 000000003508: D3F30054 1D520158
	v_mfma_f32_16x16x32_fp8_fp8 v[84:87], a[90:91], a[2:3], v[84:87]// 000000003510: D3F30054 1D52055A
	buffer_load_dwordx4 a[116:119], v60, s[24:27], 0 offen offset:1024// 000000003518: E05C1400 8086743C
	v_mfma_f32_16x16x32_fp8_fp8 v[84:87], a[92:93], a[4:5], v[84:87]// 000000003520: D3F30054 1D52095C
	v_mfma_f32_16x16x32_fp8_fp8 v[84:87], a[94:95], a[6:7], v[84:87]// 000000003528: D3F30054 1D520D5E
	v_mfma_f32_16x16x32_fp8_fp8 v[68:71], a[80:81], a[8:9], v[68:71]// 000000003530: D3F30044 1D121150
	v_mfma_f32_16x16x32_fp8_fp8 v[68:71], a[82:83], a[10:11], v[68:71]// 000000003538: D3F30044 1D121552
	buffer_load_dwordx4 a[120:123], v61, s[24:27], 0 offen     // 000000003540: E05C1000 8086783D
	v_mfma_f32_16x16x32_fp8_fp8 v[68:71], a[84:85], a[12:13], v[68:71]// 000000003548: D3F30044 1D121954
	v_mfma_f32_16x16x32_fp8_fp8 v[68:71], a[86:87], a[14:15], v[68:71]// 000000003550: D3F30044 1D121D56
	v_mfma_f32_16x16x32_fp8_fp8 v[88:91], a[88:89], a[8:9], v[88:91]// 000000003558: D3F30058 1D621158
	v_mfma_f32_16x16x32_fp8_fp8 v[88:91], a[90:91], a[10:11], v[88:91]// 000000003560: D3F30058 1D62155A
	buffer_load_dwordx4 a[124:127], v61, s[24:27], 0 offen offset:1024// 000000003568: E05C1400 80867C3D
	buffer_load_dword v50, s[20:23], 0 offen lds               // 000000003570: E0511000 80050032
	s_add_u32 m0, 0x100, s50                                   // 000000003578: 807C32FF 00000100
	v_mfma_f32_16x16x32_fp8_fp8 v[88:91], a[92:93], a[12:13], v[88:91]// 000000003580: D3F30058 1D62195C
	v_mfma_f32_16x16x32_fp8_fp8 v[88:91], a[94:95], a[14:15], v[88:91]// 000000003588: D3F30058 1D621D5E
	buffer_load_dword v51, s[20:23], 0 offen lds               // 000000003590: E0511000 80050033
	s_add_u32 m0, 0x200, s50                                   // 000000003598: 807C32FF 00000200
	v_mfma_f32_16x16x32_fp8_fp8 v[72:75], a[80:81], a[16:17], v[72:75]// 0000000035A0: D3F30048 1D222150
	v_mfma_f32_16x16x32_fp8_fp8 v[72:75], a[82:83], a[18:19], v[72:75]// 0000000035A8: D3F30048 1D222552
	buffer_load_dword v52, s[20:23], 0 offen lds               // 0000000035B0: E0511000 80050034
	s_add_u32 m0, 0x300, s50                                   // 0000000035B8: 807C32FF 00000300
	v_mfma_f32_16x16x32_fp8_fp8 v[72:75], a[84:85], a[20:21], v[72:75]// 0000000035C0: D3F30048 1D222954
	v_mfma_f32_16x16x32_fp8_fp8 v[72:75], a[86:87], a[22:23], v[72:75]// 0000000035C8: D3F30048 1D222D56
	buffer_load_dword v53, s[20:23], 0 offen lds               // 0000000035D0: E0511000 80050035
	s_add_u32 m0, 0x400, s50                                   // 0000000035D8: 807C32FF 00000400
	v_mfma_f32_16x16x32_fp8_fp8 v[92:95], a[88:89], a[16:17], v[92:95]// 0000000035E0: D3F3005C 1D722158
	v_mfma_f32_16x16x32_fp8_fp8 v[92:95], a[90:91], a[18:19], v[92:95]// 0000000035E8: D3F3005C 1D72255A
	buffer_load_dword v54, s[20:23], 0 offen lds               // 0000000035F0: E0511000 80050036
	s_add_u32 m0, 0x500, s50                                   // 0000000035F8: 807C32FF 00000500
	v_mfma_f32_16x16x32_fp8_fp8 v[92:95], a[92:93], a[20:21], v[92:95]// 000000003600: D3F3005C 1D72295C
	v_mfma_f32_16x16x32_fp8_fp8 v[92:95], a[94:95], a[22:23], v[92:95]// 000000003608: D3F3005C 1D722D5E
	buffer_load_dword v55, s[20:23], 0 offen lds               // 000000003610: E0511000 80050037
	s_add_u32 m0, 0x600, s50                                   // 000000003618: 807C32FF 00000600
	v_mfma_f32_16x16x32_fp8_fp8 v[76:79], a[80:81], a[24:25], v[76:79]// 000000003620: D3F3004C 1D323150
	v_mfma_f32_16x16x32_fp8_fp8 v[76:79], a[82:83], a[26:27], v[76:79]// 000000003628: D3F3004C 1D323552
	buffer_load_dword v56, s[20:23], 0 offen lds               // 000000003630: E0511000 80050038
	s_add_u32 m0, 0x700, s50                                   // 000000003638: 807C32FF 00000700
	v_mfma_f32_16x16x32_fp8_fp8 v[76:79], a[84:85], a[28:29], v[76:79]// 000000003640: D3F3004C 1D323954
	v_mfma_f32_16x16x32_fp8_fp8 v[76:79], a[86:87], a[30:31], v[76:79]// 000000003648: D3F3004C 1D323D56
	buffer_load_dword v57, s[20:23], 0 offen lds               // 000000003650: E0511000 80050039
	s_add_u32 m0, 0x800, s50                                   // 000000003658: 807C32FF 00000800
	v_mfma_f32_16x16x32_fp8_fp8 v[96:99], a[88:89], a[24:25], v[96:99]// 000000003660: D3F30060 1D823158
	v_mfma_f32_16x16x32_fp8_fp8 v[96:99], a[90:91], a[26:27], v[96:99]// 000000003668: D3F30060 1D82355A
	buffer_load_dword v58, s[20:23], 0 offen lds               // 000000003670: E0511000 8005003A
	s_add_u32 m0, 0x900, s50                                   // 000000003678: 807C32FF 00000900
	v_mfma_f32_16x16x32_fp8_fp8 v[96:99], a[92:93], a[28:29], v[96:99]// 000000003680: D3F30060 1D82395C
	v_mfma_f32_16x16x32_fp8_fp8 v[96:99], a[94:95], a[30:31], v[96:99]// 000000003688: D3F30060 1D823D5E
	buffer_load_dword v59, s[20:23], 0 offen lds               // 000000003690: E0511000 8005003B
	s_add_u32 m0, 0, s48                                       // 000000003698: 807C3080
	v_mfma_f32_16x16x32_fp8_fp8 v[80:83], a[80:81], a[32:33], v[80:83]// 00000000369C: D3F30050 1D424150
	v_mfma_f32_16x16x32_fp8_fp8 v[80:83], a[82:83], a[34:35], v[80:83]// 0000000036A4: D3F30050 1D424552
	v_mfma_f32_16x16x32_fp8_fp8 v[80:83], a[84:85], a[36:37], v[80:83]// 0000000036AC: D3F30050 1D424954
	v_mfma_f32_16x16x32_fp8_fp8 v[80:83], a[86:87], a[38:39], v[80:83]// 0000000036B4: D3F30050 1D424D56
	v_mfma_f32_16x16x32_fp8_fp8 v[100:103], a[88:89], a[32:33], v[100:103]// 0000000036BC: D3F30064 1D924158
	v_mfma_f32_16x16x32_fp8_fp8 v[100:103], a[90:91], a[34:35], v[100:103]// 0000000036C4: D3F30064 1D92455A
	v_mfma_f32_16x16x32_fp8_fp8 v[100:103], a[92:93], a[36:37], v[100:103]// 0000000036CC: D3F30064 1D92495C
	v_mfma_f32_16x16x32_fp8_fp8 v[100:103], a[94:95], a[38:39], v[100:103]// 0000000036D4: D3F30064 1D924D5E
	s_waitcnt vmcnt(14)                                        // 0000000036DC: BF8C0F7E
	s_barrier                                                  // 0000000036E0: BF8A0000
	v_mfma_f32_16x16x32_fp8_fp8 v[104:107], a[96:97], a[0:1], v[104:107]// 0000000036E4: D3F30068 1DA20160
	v_mfma_f32_16x16x32_fp8_fp8 v[104:107], a[98:99], a[2:3], v[104:107]// 0000000036EC: D3F30068 1DA20562
	buffer_load_dwordx4 a[80:83], v60, s[84:87], 0 offen       // 0000000036F4: E05C1000 8095503C
	v_mfma_f32_16x16x32_fp8_fp8 v[104:107], a[100:101], a[4:5], v[104:107]// 0000000036FC: D3F30068 1DA20964
	v_mfma_f32_16x16x32_fp8_fp8 v[104:107], a[102:103], a[6:7], v[104:107]// 000000003704: D3F30068 1DA20D66
	ds_read_b128 a[40:43], v2 offset:10368                     // 00000000370C: DBFE2880 28000002
	ds_read_b128 a[44:47], v2 offset:10432                     // 000000003714: DBFE28C0 2C000002
	v_mfma_f32_16x16x32_fp8_fp8 v[124:127], a[104:105], a[0:1], v[124:127]// 00000000371C: D3F3007C 1DF20168
	v_mfma_f32_16x16x32_fp8_fp8 v[124:127], a[106:107], a[2:3], v[124:127]// 000000003724: D3F3007C 1DF2056A
	buffer_load_dwordx4 a[84:87], v60, s[84:87], 0 offen offset:1024// 00000000372C: E05C1400 8095543C
	v_mfma_f32_16x16x32_fp8_fp8 v[124:127], a[108:109], a[4:5], v[124:127]// 000000003734: D3F3007C 1DF2096C
	v_mfma_f32_16x16x32_fp8_fp8 v[124:127], a[110:111], a[6:7], v[124:127]// 00000000373C: D3F3007C 1DF20D6E
	ds_read_b128 a[48:51], v2 offset:10880                     // 000000003744: DBFE2A80 30000002
	ds_read_b128 a[52:55], v2 offset:10944                     // 00000000374C: DBFE2AC0 34000002
	v_mfma_f32_16x16x32_fp8_fp8 v[108:111], a[96:97], a[8:9], v[108:111]// 000000003754: D3F3006C 1DB21160
	v_mfma_f32_16x16x32_fp8_fp8 v[108:111], a[98:99], a[10:11], v[108:111]// 00000000375C: D3F3006C 1DB21562
	buffer_load_dwordx4 a[88:91], v61, s[84:87], 0 offen       // 000000003764: E05C1000 8095583D
	v_mfma_f32_16x16x32_fp8_fp8 v[108:111], a[100:101], a[12:13], v[108:111]// 00000000376C: D3F3006C 1DB21964
	v_mfma_f32_16x16x32_fp8_fp8 v[108:111], a[102:103], a[14:15], v[108:111]// 000000003774: D3F3006C 1DB21D66
	ds_read_b128 a[56:59], v2 offset:11392                     // 00000000377C: DBFE2C80 38000002
	ds_read_b128 a[60:63], v2 offset:11456                     // 000000003784: DBFE2CC0 3C000002
	v_mfma_f32_16x16x32_fp8_fp8 v[128:131], a[104:105], a[8:9], v[128:131]// 00000000378C: D3F30080 1E021168
	v_mfma_f32_16x16x32_fp8_fp8 v[128:131], a[106:107], a[10:11], v[128:131]// 000000003794: D3F30080 1E02156A
	buffer_load_dwordx4 a[92:95], v61, s[84:87], 0 offen offset:1024// 00000000379C: E05C1400 80955C3D
	v_mfma_f32_16x16x32_fp8_fp8 v[128:131], a[108:109], a[12:13], v[128:131]// 0000000037A4: D3F30080 1E02196C
	v_mfma_f32_16x16x32_fp8_fp8 v[128:131], a[110:111], a[14:15], v[128:131]// 0000000037AC: D3F30080 1E021D6E
	ds_read_b128 a[64:67], v2 offset:11904                     // 0000000037B4: DBFE2E80 40000002
	ds_read_b128 a[68:71], v2 offset:11968                     // 0000000037BC: DBFE2EC0 44000002
	v_mfma_f32_16x16x32_fp8_fp8 v[112:115], a[96:97], a[16:17], v[112:115]// 0000000037C4: D3F30070 1DC22160
	v_mfma_f32_16x16x32_fp8_fp8 v[112:115], a[98:99], a[18:19], v[112:115]// 0000000037CC: D3F30070 1DC22562
	v_mfma_f32_16x16x32_fp8_fp8 v[112:115], a[100:101], a[20:21], v[112:115]// 0000000037D4: D3F30070 1DC22964
	v_mfma_f32_16x16x32_fp8_fp8 v[112:115], a[102:103], a[22:23], v[112:115]// 0000000037DC: D3F30070 1DC22D66
	ds_read_b128 a[72:75], v2 offset:12416                     // 0000000037E4: DBFE3080 48000002
	ds_read_b128 a[76:79], v2 offset:12480                     // 0000000037EC: DBFE30C0 4C000002
	v_mfma_f32_16x16x32_fp8_fp8 v[132:135], a[104:105], a[16:17], v[132:135]// 0000000037F4: D3F30084 1E122168
	v_mfma_f32_16x16x32_fp8_fp8 v[132:135], a[106:107], a[18:19], v[132:135]// 0000000037FC: D3F30084 1E12256A
	v_mfma_f32_16x16x32_fp8_fp8 v[132:135], a[108:109], a[20:21], v[132:135]// 000000003804: D3F30084 1E12296C
	v_mfma_f32_16x16x32_fp8_fp8 v[132:135], a[110:111], a[22:23], v[132:135]// 00000000380C: D3F30084 1E122D6E
	v_mfma_f32_16x16x32_fp8_fp8 v[116:119], a[96:97], a[24:25], v[116:119]// 000000003814: D3F30074 1DD23160
	v_mfma_f32_16x16x32_fp8_fp8 v[116:119], a[98:99], a[26:27], v[116:119]// 00000000381C: D3F30074 1DD23562
	v_mfma_f32_16x16x32_fp8_fp8 v[116:119], a[100:101], a[28:29], v[116:119]// 000000003824: D3F30074 1DD23964
	v_mfma_f32_16x16x32_fp8_fp8 v[116:119], a[102:103], a[30:31], v[116:119]// 00000000382C: D3F30074 1DD23D66
	v_mfma_f32_16x16x32_fp8_fp8 v[136:139], a[104:105], a[24:25], v[136:139]// 000000003834: D3F30088 1E223168
	v_mfma_f32_16x16x32_fp8_fp8 v[136:139], a[106:107], a[26:27], v[136:139]// 00000000383C: D3F30088 1E22356A
	v_mfma_f32_16x16x32_fp8_fp8 v[136:139], a[108:109], a[28:29], v[136:139]// 000000003844: D3F30088 1E22396C
	v_mfma_f32_16x16x32_fp8_fp8 v[136:139], a[110:111], a[30:31], v[136:139]// 00000000384C: D3F30088 1E223D6E
	v_mfma_f32_16x16x32_fp8_fp8 v[120:123], a[96:97], a[32:33], v[120:123]// 000000003854: D3F30078 1DE24160
	s_add_u32 s60, 0x180, s80                                  // 00000000385C: 803C50FF 00000180
	s_cmp_lt_u32 s60, s81                                      // 000000003864: BF0A513C
	s_cselect_b32 s57, s57, 0                                  // 000000003868: 85398039
	v_mfma_f32_16x16x32_fp8_fp8 v[120:123], a[98:99], a[34:35], v[120:123]// 00000000386C: D3F30078 1DE24562
	s_add_u32 s60, 0x100, s80                                  // 000000003874: 803C50FF 00000100
	s_cmp_lt_u32 s60, s81                                      // 00000000387C: BF0A513C
	s_cselect_b32 s58, s58, 0                                  // 000000003880: 853A803A
	v_mfma_f32_16x16x32_fp8_fp8 v[120:123], a[100:101], a[36:37], v[120:123]// 000000003884: D3F30078 1DE24964
	s_add_u32 s60, 0x100, s80                                  // 00000000388C: 803C50FF 00000100
	s_cmp_lt_u32 s60, s81                                      // 000000003894: BF0A513C
	s_cselect_b32 s83, s83, 0                                  // 000000003898: 85538053
	v_mfma_f32_16x16x32_fp8_fp8 v[120:123], a[102:103], a[38:39], v[120:123]// 00000000389C: D3F30078 1DE24D66
	s_add_u32 s24, s58, s24                                    // 0000000038A4: 8018183A
	s_addc_u32 s25, 0, s25                                     // 0000000038A8: 82191980
	v_mfma_f32_16x16x32_fp8_fp8 v[140:143], a[104:105], a[32:33], v[140:143]// 0000000038AC: D3F3008C 1E324168
	s_add_u32 s20, s57, s20                                    // 0000000038B4: 80141439
	s_addc_u32 s21, 0, s21                                     // 0000000038B8: 82151580
	v_mfma_f32_16x16x32_fp8_fp8 v[140:143], a[106:107], a[34:35], v[140:143]// 0000000038BC: D3F3008C 1E32456A
	s_add_u32 s84, s83, s84                                    // 0000000038C4: 80545453
	s_addc_u32 s85, 0, s85                                     // 0000000038C8: 82555580
	v_mfma_f32_16x16x32_fp8_fp8 v[140:143], a[108:109], a[36:37], v[140:143]// 0000000038CC: D3F3008C 1E32496C
	v_mfma_f32_16x16x32_fp8_fp8 v[140:143], a[110:111], a[38:39], v[140:143]// 0000000038D4: D3F3008C 1E324D6E
	s_addk_i32 s80, 0x80                                       // 0000000038DC: B7500080
	s_cmp_lt_i32 s80, s81                                      // 0000000038E0: BF045150
	s_cbranch_scc0 label_08CA                                  // 0000000038E4: BF840510
	s_waitcnt vmcnt(14) lgkmcnt(0)                             // 0000000038E8: BF8C007E
	v_mfma_f32_16x16x32_fp8_fp8 v[64:67], a[112:113], a[40:41], v[64:67]// 0000000038EC: D3F30040 1D025170
	v_mfma_f32_16x16x32_fp8_fp8 v[64:67], a[114:115], a[42:43], v[64:67]// 0000000038F4: D3F30040 1D025572
	buffer_load_dwordx4 a[96:99], v60, s[24:27], 0 offen       // 0000000038FC: E05C1000 8086603C
	v_mfma_f32_16x16x32_fp8_fp8 v[64:67], a[116:117], a[44:45], v[64:67]// 000000003904: D3F30040 1D025974
	v_mfma_f32_16x16x32_fp8_fp8 v[64:67], a[118:119], a[46:47], v[64:67]// 00000000390C: D3F30040 1D025D76
	v_mfma_f32_16x16x32_fp8_fp8 v[84:87], a[120:121], a[40:41], v[84:87]// 000000003914: D3F30054 1D525178
	v_mfma_f32_16x16x32_fp8_fp8 v[84:87], a[122:123], a[42:43], v[84:87]// 00000000391C: D3F30054 1D52557A
	buffer_load_dwordx4 a[100:103], v60, s[24:27], 0 offen offset:1024// 000000003924: E05C1400 8086643C
	v_mfma_f32_16x16x32_fp8_fp8 v[84:87], a[124:125], a[44:45], v[84:87]// 00000000392C: D3F30054 1D52597C
	v_mfma_f32_16x16x32_fp8_fp8 v[84:87], a[126:127], a[46:47], v[84:87]// 000000003934: D3F30054 1D525D7E
	v_mfma_f32_16x16x32_fp8_fp8 v[68:71], a[112:113], a[48:49], v[68:71]// 00000000393C: D3F30044 1D126170
	v_mfma_f32_16x16x32_fp8_fp8 v[68:71], a[114:115], a[50:51], v[68:71]// 000000003944: D3F30044 1D126572
	buffer_load_dwordx4 a[104:107], v61, s[24:27], 0 offen     // 00000000394C: E05C1000 8086683D
	v_mfma_f32_16x16x32_fp8_fp8 v[68:71], a[116:117], a[52:53], v[68:71]// 000000003954: D3F30044 1D126974
	v_mfma_f32_16x16x32_fp8_fp8 v[68:71], a[118:119], a[54:55], v[68:71]// 00000000395C: D3F30044 1D126D76
	v_mfma_f32_16x16x32_fp8_fp8 v[88:91], a[120:121], a[48:49], v[88:91]// 000000003964: D3F30058 1D626178
	v_mfma_f32_16x16x32_fp8_fp8 v[88:91], a[122:123], a[50:51], v[88:91]// 00000000396C: D3F30058 1D62657A
	buffer_load_dwordx4 a[108:111], v61, s[24:27], 0 offen offset:1024// 000000003974: E05C1400 80866C3D
	buffer_load_dword v50, s[20:23], 0 offen lds               // 00000000397C: E0511000 80050032
	s_add_u32 m0, 0x100, s48                                   // 000000003984: 807C30FF 00000100
	v_mfma_f32_16x16x32_fp8_fp8 v[88:91], a[124:125], a[52:53], v[88:91]// 00000000398C: D3F30058 1D62697C
	v_mfma_f32_16x16x32_fp8_fp8 v[88:91], a[126:127], a[54:55], v[88:91]// 000000003994: D3F30058 1D626D7E
	buffer_load_dword v51, s[20:23], 0 offen lds               // 00000000399C: E0511000 80050033
	s_add_u32 m0, 0x200, s48                                   // 0000000039A4: 807C30FF 00000200
	v_mfma_f32_16x16x32_fp8_fp8 v[72:75], a[112:113], a[56:57], v[72:75]// 0000000039AC: D3F30048 1D227170
	v_mfma_f32_16x16x32_fp8_fp8 v[72:75], a[114:115], a[58:59], v[72:75]// 0000000039B4: D3F30048 1D227572
	buffer_load_dword v52, s[20:23], 0 offen lds               // 0000000039BC: E0511000 80050034
	s_add_u32 m0, 0x300, s48                                   // 0000000039C4: 807C30FF 00000300
	v_mfma_f32_16x16x32_fp8_fp8 v[72:75], a[116:117], a[60:61], v[72:75]// 0000000039CC: D3F30048 1D227974
	v_mfma_f32_16x16x32_fp8_fp8 v[72:75], a[118:119], a[62:63], v[72:75]// 0000000039D4: D3F30048 1D227D76
	buffer_load_dword v53, s[20:23], 0 offen lds               // 0000000039DC: E0511000 80050035
	s_add_u32 m0, 0x400, s48                                   // 0000000039E4: 807C30FF 00000400
	v_mfma_f32_16x16x32_fp8_fp8 v[92:95], a[120:121], a[56:57], v[92:95]// 0000000039EC: D3F3005C 1D727178
	v_mfma_f32_16x16x32_fp8_fp8 v[92:95], a[122:123], a[58:59], v[92:95]// 0000000039F4: D3F3005C 1D72757A
	buffer_load_dword v54, s[20:23], 0 offen lds               // 0000000039FC: E0511000 80050036
	s_add_u32 m0, 0x500, s48                                   // 000000003A04: 807C30FF 00000500
	v_mfma_f32_16x16x32_fp8_fp8 v[92:95], a[124:125], a[60:61], v[92:95]// 000000003A0C: D3F3005C 1D72797C
	v_mfma_f32_16x16x32_fp8_fp8 v[92:95], a[126:127], a[62:63], v[92:95]// 000000003A14: D3F3005C 1D727D7E
	buffer_load_dword v55, s[20:23], 0 offen lds               // 000000003A1C: E0511000 80050037
	s_add_u32 m0, 0x600, s48                                   // 000000003A24: 807C30FF 00000600
	v_mfma_f32_16x16x32_fp8_fp8 v[76:79], a[112:113], a[64:65], v[76:79]// 000000003A2C: D3F3004C 1D328170
	v_mfma_f32_16x16x32_fp8_fp8 v[76:79], a[114:115], a[66:67], v[76:79]// 000000003A34: D3F3004C 1D328572
	buffer_load_dword v56, s[20:23], 0 offen lds               // 000000003A3C: E0511000 80050038
	s_add_u32 m0, 0x700, s48                                   // 000000003A44: 807C30FF 00000700
	v_mfma_f32_16x16x32_fp8_fp8 v[76:79], a[116:117], a[68:69], v[76:79]// 000000003A4C: D3F3004C 1D328974
	v_mfma_f32_16x16x32_fp8_fp8 v[76:79], a[118:119], a[70:71], v[76:79]// 000000003A54: D3F3004C 1D328D76
	buffer_load_dword v57, s[20:23], 0 offen lds               // 000000003A5C: E0511000 80050039
	s_add_u32 m0, 0x800, s48                                   // 000000003A64: 807C30FF 00000800
	v_mfma_f32_16x16x32_fp8_fp8 v[96:99], a[120:121], a[64:65], v[96:99]// 000000003A6C: D3F30060 1D828178
	v_mfma_f32_16x16x32_fp8_fp8 v[96:99], a[122:123], a[66:67], v[96:99]// 000000003A74: D3F30060 1D82857A
	buffer_load_dword v58, s[20:23], 0 offen lds               // 000000003A7C: E0511000 8005003A
	s_add_u32 m0, 0x900, s48                                   // 000000003A84: 807C30FF 00000900
	v_mfma_f32_16x16x32_fp8_fp8 v[96:99], a[124:125], a[68:69], v[96:99]// 000000003A8C: D3F30060 1D82897C
	v_mfma_f32_16x16x32_fp8_fp8 v[96:99], a[126:127], a[70:71], v[96:99]// 000000003A94: D3F30060 1D828D7E
	buffer_load_dword v59, s[20:23], 0 offen lds               // 000000003A9C: E0511000 8005003B
	s_add_u32 m0, 0, s49                                       // 000000003AA4: 807C3180
	v_mfma_f32_16x16x32_fp8_fp8 v[80:83], a[112:113], a[72:73], v[80:83]// 000000003AA8: D3F30050 1D429170
	v_mfma_f32_16x16x32_fp8_fp8 v[80:83], a[114:115], a[74:75], v[80:83]// 000000003AB0: D3F30050 1D429572
	v_mfma_f32_16x16x32_fp8_fp8 v[80:83], a[116:117], a[76:77], v[80:83]// 000000003AB8: D3F30050 1D429974
	v_mfma_f32_16x16x32_fp8_fp8 v[80:83], a[118:119], a[78:79], v[80:83]// 000000003AC0: D3F30050 1D429D76
	v_mfma_f32_16x16x32_fp8_fp8 v[100:103], a[120:121], a[72:73], v[100:103]// 000000003AC8: D3F30064 1D929178
	v_mfma_f32_16x16x32_fp8_fp8 v[100:103], a[122:123], a[74:75], v[100:103]// 000000003AD0: D3F30064 1D92957A
	v_mfma_f32_16x16x32_fp8_fp8 v[100:103], a[124:125], a[76:77], v[100:103]// 000000003AD8: D3F30064 1D92997C
	v_mfma_f32_16x16x32_fp8_fp8 v[100:103], a[126:127], a[78:79], v[100:103]// 000000003AE0: D3F30064 1D929D7E
	s_waitcnt vmcnt(14)                                        // 000000003AE8: BF8C0F7E
	s_barrier                                                  // 000000003AEC: BF8A0000
	v_mfma_f32_16x16x32_fp8_fp8 v[104:107], a[80:81], a[40:41], v[104:107]// 000000003AF0: D3F30068 1DA25150
	v_mfma_f32_16x16x32_fp8_fp8 v[104:107], a[82:83], a[42:43], v[104:107]// 000000003AF8: D3F30068 1DA25552
	buffer_load_dwordx4 a[112:115], v60, s[84:87], 0 offen     // 000000003B00: E05C1000 8095703C
	v_mfma_f32_16x16x32_fp8_fp8 v[104:107], a[84:85], a[44:45], v[104:107]// 000000003B08: D3F30068 1DA25954
	v_mfma_f32_16x16x32_fp8_fp8 v[104:107], a[86:87], a[46:47], v[104:107]// 000000003B10: D3F30068 1DA25D56
	ds_read_b128 a[0:3], v2 offset:20736                       // 000000003B18: DBFE5100 00000002
	ds_read_b128 a[4:7], v2 offset:20800                       // 000000003B20: DBFE5140 04000002
	v_mfma_f32_16x16x32_fp8_fp8 v[124:127], a[88:89], a[40:41], v[124:127]// 000000003B28: D3F3007C 1DF25158
	v_mfma_f32_16x16x32_fp8_fp8 v[124:127], a[90:91], a[42:43], v[124:127]// 000000003B30: D3F3007C 1DF2555A
	buffer_load_dwordx4 a[116:119], v60, s[84:87], 0 offen offset:1024// 000000003B38: E05C1400 8095743C
	v_mfma_f32_16x16x32_fp8_fp8 v[124:127], a[92:93], a[44:45], v[124:127]// 000000003B40: D3F3007C 1DF2595C
	v_mfma_f32_16x16x32_fp8_fp8 v[124:127], a[94:95], a[46:47], v[124:127]// 000000003B48: D3F3007C 1DF25D5E
	ds_read_b128 a[8:11], v2 offset:21248                      // 000000003B50: DBFE5300 08000002
	ds_read_b128 a[12:15], v2 offset:21312                     // 000000003B58: DBFE5340 0C000002
	v_mfma_f32_16x16x32_fp8_fp8 v[108:111], a[80:81], a[48:49], v[108:111]// 000000003B60: D3F3006C 1DB26150
	v_mfma_f32_16x16x32_fp8_fp8 v[108:111], a[82:83], a[50:51], v[108:111]// 000000003B68: D3F3006C 1DB26552
	buffer_load_dwordx4 a[120:123], v61, s[84:87], 0 offen     // 000000003B70: E05C1000 8095783D
	v_mfma_f32_16x16x32_fp8_fp8 v[108:111], a[84:85], a[52:53], v[108:111]// 000000003B78: D3F3006C 1DB26954
	v_mfma_f32_16x16x32_fp8_fp8 v[108:111], a[86:87], a[54:55], v[108:111]// 000000003B80: D3F3006C 1DB26D56
	ds_read_b128 a[16:19], v2 offset:21760                     // 000000003B88: DBFE5500 10000002
	ds_read_b128 a[20:23], v2 offset:21824                     // 000000003B90: DBFE5540 14000002
	v_mfma_f32_16x16x32_fp8_fp8 v[128:131], a[88:89], a[48:49], v[128:131]// 000000003B98: D3F30080 1E026158
	v_mfma_f32_16x16x32_fp8_fp8 v[128:131], a[90:91], a[50:51], v[128:131]// 000000003BA0: D3F30080 1E02655A
	buffer_load_dwordx4 a[124:127], v61, s[84:87], 0 offen offset:1024// 000000003BA8: E05C1400 80957C3D
	v_mfma_f32_16x16x32_fp8_fp8 v[128:131], a[92:93], a[52:53], v[128:131]// 000000003BB0: D3F30080 1E02695C
	v_mfma_f32_16x16x32_fp8_fp8 v[128:131], a[94:95], a[54:55], v[128:131]// 000000003BB8: D3F30080 1E026D5E
	ds_read_b128 a[24:27], v2 offset:22272                     // 000000003BC0: DBFE5700 18000002
	ds_read_b128 a[28:31], v2 offset:22336                     // 000000003BC8: DBFE5740 1C000002
	v_mfma_f32_16x16x32_fp8_fp8 v[112:115], a[80:81], a[56:57], v[112:115]// 000000003BD0: D3F30070 1DC27150
	v_mfma_f32_16x16x32_fp8_fp8 v[112:115], a[82:83], a[58:59], v[112:115]// 000000003BD8: D3F30070 1DC27552
	v_mfma_f32_16x16x32_fp8_fp8 v[112:115], a[84:85], a[60:61], v[112:115]// 000000003BE0: D3F30070 1DC27954
	v_mfma_f32_16x16x32_fp8_fp8 v[112:115], a[86:87], a[62:63], v[112:115]// 000000003BE8: D3F30070 1DC27D56
	ds_read_b128 a[32:35], v2 offset:22784                     // 000000003BF0: DBFE5900 20000002
	ds_read_b128 a[36:39], v2 offset:22848                     // 000000003BF8: DBFE5940 24000002
	v_mfma_f32_16x16x32_fp8_fp8 v[132:135], a[88:89], a[56:57], v[132:135]// 000000003C00: D3F30084 1E127158
	v_mfma_f32_16x16x32_fp8_fp8 v[132:135], a[90:91], a[58:59], v[132:135]// 000000003C08: D3F30084 1E12755A
	v_mfma_f32_16x16x32_fp8_fp8 v[132:135], a[92:93], a[60:61], v[132:135]// 000000003C10: D3F30084 1E12795C
	v_mfma_f32_16x16x32_fp8_fp8 v[132:135], a[94:95], a[62:63], v[132:135]// 000000003C18: D3F30084 1E127D5E
	v_mfma_f32_16x16x32_fp8_fp8 v[116:119], a[80:81], a[64:65], v[116:119]// 000000003C20: D3F30074 1DD28150
	v_mfma_f32_16x16x32_fp8_fp8 v[116:119], a[82:83], a[66:67], v[116:119]// 000000003C28: D3F30074 1DD28552
	v_mfma_f32_16x16x32_fp8_fp8 v[116:119], a[84:85], a[68:69], v[116:119]// 000000003C30: D3F30074 1DD28954
	v_mfma_f32_16x16x32_fp8_fp8 v[116:119], a[86:87], a[70:71], v[116:119]// 000000003C38: D3F30074 1DD28D56
	v_mfma_f32_16x16x32_fp8_fp8 v[136:139], a[88:89], a[64:65], v[136:139]// 000000003C40: D3F30088 1E228158
	v_mfma_f32_16x16x32_fp8_fp8 v[136:139], a[90:91], a[66:67], v[136:139]// 000000003C48: D3F30088 1E22855A
	v_mfma_f32_16x16x32_fp8_fp8 v[136:139], a[92:93], a[68:69], v[136:139]// 000000003C50: D3F30088 1E22895C
	v_mfma_f32_16x16x32_fp8_fp8 v[136:139], a[94:95], a[70:71], v[136:139]// 000000003C58: D3F30088 1E228D5E
	v_mfma_f32_16x16x32_fp8_fp8 v[120:123], a[80:81], a[72:73], v[120:123]// 000000003C60: D3F30078 1DE29150
	s_add_u32 s60, 0x180, s80                                  // 000000003C68: 803C50FF 00000180
	s_cmp_lt_u32 s60, s81                                      // 000000003C70: BF0A513C
	s_cselect_b32 s57, s57, 0                                  // 000000003C74: 85398039
	v_mfma_f32_16x16x32_fp8_fp8 v[120:123], a[82:83], a[74:75], v[120:123]// 000000003C78: D3F30078 1DE29552
	s_add_u32 s60, 0x100, s80                                  // 000000003C80: 803C50FF 00000100
	s_cmp_lt_u32 s60, s81                                      // 000000003C88: BF0A513C
	s_cselect_b32 s58, s58, 0                                  // 000000003C8C: 853A803A
	v_mfma_f32_16x16x32_fp8_fp8 v[120:123], a[84:85], a[76:77], v[120:123]// 000000003C90: D3F30078 1DE29954
	s_add_u32 s60, 0x100, s80                                  // 000000003C98: 803C50FF 00000100
	s_cmp_lt_u32 s60, s81                                      // 000000003CA0: BF0A513C
	s_cselect_b32 s83, s83, 0                                  // 000000003CA4: 85538053
	v_mfma_f32_16x16x32_fp8_fp8 v[120:123], a[86:87], a[78:79], v[120:123]// 000000003CA8: D3F30078 1DE29D56
	s_add_u32 s24, s58, s24                                    // 000000003CB0: 8018183A
	s_addc_u32 s25, 0, s25                                     // 000000003CB4: 82191980
	v_mfma_f32_16x16x32_fp8_fp8 v[140:143], a[88:89], a[72:73], v[140:143]// 000000003CB8: D3F3008C 1E329158
	s_add_u32 s20, s57, s20                                    // 000000003CC0: 80141439
	s_addc_u32 s21, 0, s21                                     // 000000003CC4: 82151580
	v_mfma_f32_16x16x32_fp8_fp8 v[140:143], a[90:91], a[74:75], v[140:143]// 000000003CC8: D3F3008C 1E32955A
	s_add_u32 s84, s83, s84                                    // 000000003CD0: 80545453
	s_addc_u32 s85, 0, s85                                     // 000000003CD4: 82555580
	v_mfma_f32_16x16x32_fp8_fp8 v[140:143], a[92:93], a[76:77], v[140:143]// 000000003CD8: D3F3008C 1E32995C
	v_mfma_f32_16x16x32_fp8_fp8 v[140:143], a[94:95], a[78:79], v[140:143]// 000000003CE0: D3F3008C 1E329D5E
	s_addk_i32 s80, 0x80                                       // 000000003CE8: B7500080
	s_cmp_lt_i32 s80, s81                                      // 000000003CEC: BF045150
	s_cbranch_scc0 label_08CA                                  // 000000003CF0: BF84040D
	s_waitcnt vmcnt(14) lgkmcnt(0)                             // 000000003CF4: BF8C007E
	v_mfma_f32_16x16x32_fp8_fp8 v[64:67], a[96:97], a[0:1], v[64:67]// 000000003CF8: D3F30040 1D020160
	v_mfma_f32_16x16x32_fp8_fp8 v[64:67], a[98:99], a[2:3], v[64:67]// 000000003D00: D3F30040 1D020562
	buffer_load_dwordx4 a[80:83], v60, s[24:27], 0 offen       // 000000003D08: E05C1000 8086503C
	v_mfma_f32_16x16x32_fp8_fp8 v[64:67], a[100:101], a[4:5], v[64:67]// 000000003D10: D3F30040 1D020964
	v_mfma_f32_16x16x32_fp8_fp8 v[64:67], a[102:103], a[6:7], v[64:67]// 000000003D18: D3F30040 1D020D66
	v_mfma_f32_16x16x32_fp8_fp8 v[84:87], a[104:105], a[0:1], v[84:87]// 000000003D20: D3F30054 1D520168
	v_mfma_f32_16x16x32_fp8_fp8 v[84:87], a[106:107], a[2:3], v[84:87]// 000000003D28: D3F30054 1D52056A
	buffer_load_dwordx4 a[84:87], v60, s[24:27], 0 offen offset:1024// 000000003D30: E05C1400 8086543C
	v_mfma_f32_16x16x32_fp8_fp8 v[84:87], a[108:109], a[4:5], v[84:87]// 000000003D38: D3F30054 1D52096C
	v_mfma_f32_16x16x32_fp8_fp8 v[84:87], a[110:111], a[6:7], v[84:87]// 000000003D40: D3F30054 1D520D6E
	v_mfma_f32_16x16x32_fp8_fp8 v[68:71], a[96:97], a[8:9], v[68:71]// 000000003D48: D3F30044 1D121160
	v_mfma_f32_16x16x32_fp8_fp8 v[68:71], a[98:99], a[10:11], v[68:71]// 000000003D50: D3F30044 1D121562
	buffer_load_dwordx4 a[88:91], v61, s[24:27], 0 offen       // 000000003D58: E05C1000 8086583D
	v_mfma_f32_16x16x32_fp8_fp8 v[68:71], a[100:101], a[12:13], v[68:71]// 000000003D60: D3F30044 1D121964
	v_mfma_f32_16x16x32_fp8_fp8 v[68:71], a[102:103], a[14:15], v[68:71]// 000000003D68: D3F30044 1D121D66
	v_mfma_f32_16x16x32_fp8_fp8 v[88:91], a[104:105], a[8:9], v[88:91]// 000000003D70: D3F30058 1D621168
	v_mfma_f32_16x16x32_fp8_fp8 v[88:91], a[106:107], a[10:11], v[88:91]// 000000003D78: D3F30058 1D62156A
	buffer_load_dwordx4 a[92:95], v61, s[24:27], 0 offen offset:1024// 000000003D80: E05C1400 80865C3D
	buffer_load_dword v50, s[20:23], 0 offen lds               // 000000003D88: E0511000 80050032
	s_add_u32 m0, 0x100, s49                                   // 000000003D90: 807C31FF 00000100
	v_mfma_f32_16x16x32_fp8_fp8 v[88:91], a[108:109], a[12:13], v[88:91]// 000000003D98: D3F30058 1D62196C
	v_mfma_f32_16x16x32_fp8_fp8 v[88:91], a[110:111], a[14:15], v[88:91]// 000000003DA0: D3F30058 1D621D6E
	buffer_load_dword v51, s[20:23], 0 offen lds               // 000000003DA8: E0511000 80050033
	s_add_u32 m0, 0x200, s49                                   // 000000003DB0: 807C31FF 00000200
	v_mfma_f32_16x16x32_fp8_fp8 v[72:75], a[96:97], a[16:17], v[72:75]// 000000003DB8: D3F30048 1D222160
	v_mfma_f32_16x16x32_fp8_fp8 v[72:75], a[98:99], a[18:19], v[72:75]// 000000003DC0: D3F30048 1D222562
	buffer_load_dword v52, s[20:23], 0 offen lds               // 000000003DC8: E0511000 80050034
	s_add_u32 m0, 0x300, s49                                   // 000000003DD0: 807C31FF 00000300
	v_mfma_f32_16x16x32_fp8_fp8 v[72:75], a[100:101], a[20:21], v[72:75]// 000000003DD8: D3F30048 1D222964
	v_mfma_f32_16x16x32_fp8_fp8 v[72:75], a[102:103], a[22:23], v[72:75]// 000000003DE0: D3F30048 1D222D66
	buffer_load_dword v53, s[20:23], 0 offen lds               // 000000003DE8: E0511000 80050035
	s_add_u32 m0, 0x400, s49                                   // 000000003DF0: 807C31FF 00000400
	v_mfma_f32_16x16x32_fp8_fp8 v[92:95], a[104:105], a[16:17], v[92:95]// 000000003DF8: D3F3005C 1D722168
	v_mfma_f32_16x16x32_fp8_fp8 v[92:95], a[106:107], a[18:19], v[92:95]// 000000003E00: D3F3005C 1D72256A
	buffer_load_dword v54, s[20:23], 0 offen lds               // 000000003E08: E0511000 80050036
	s_add_u32 m0, 0x500, s49                                   // 000000003E10: 807C31FF 00000500
	v_mfma_f32_16x16x32_fp8_fp8 v[92:95], a[108:109], a[20:21], v[92:95]// 000000003E18: D3F3005C 1D72296C
	v_mfma_f32_16x16x32_fp8_fp8 v[92:95], a[110:111], a[22:23], v[92:95]// 000000003E20: D3F3005C 1D722D6E
	buffer_load_dword v55, s[20:23], 0 offen lds               // 000000003E28: E0511000 80050037
	s_add_u32 m0, 0x600, s49                                   // 000000003E30: 807C31FF 00000600
	v_mfma_f32_16x16x32_fp8_fp8 v[76:79], a[96:97], a[24:25], v[76:79]// 000000003E38: D3F3004C 1D323160
	v_mfma_f32_16x16x32_fp8_fp8 v[76:79], a[98:99], a[26:27], v[76:79]// 000000003E40: D3F3004C 1D323562
	buffer_load_dword v56, s[20:23], 0 offen lds               // 000000003E48: E0511000 80050038
	s_add_u32 m0, 0x700, s49                                   // 000000003E50: 807C31FF 00000700
	v_mfma_f32_16x16x32_fp8_fp8 v[76:79], a[100:101], a[28:29], v[76:79]// 000000003E58: D3F3004C 1D323964
	v_mfma_f32_16x16x32_fp8_fp8 v[76:79], a[102:103], a[30:31], v[76:79]// 000000003E60: D3F3004C 1D323D66
	buffer_load_dword v57, s[20:23], 0 offen lds               // 000000003E68: E0511000 80050039
	s_add_u32 m0, 0x800, s49                                   // 000000003E70: 807C31FF 00000800
	v_mfma_f32_16x16x32_fp8_fp8 v[96:99], a[104:105], a[24:25], v[96:99]// 000000003E78: D3F30060 1D823168
	v_mfma_f32_16x16x32_fp8_fp8 v[96:99], a[106:107], a[26:27], v[96:99]// 000000003E80: D3F30060 1D82356A
	buffer_load_dword v58, s[20:23], 0 offen lds               // 000000003E88: E0511000 8005003A
	s_add_u32 m0, 0x900, s49                                   // 000000003E90: 807C31FF 00000900
	v_mfma_f32_16x16x32_fp8_fp8 v[96:99], a[108:109], a[28:29], v[96:99]// 000000003E98: D3F30060 1D82396C
	v_mfma_f32_16x16x32_fp8_fp8 v[96:99], a[110:111], a[30:31], v[96:99]// 000000003EA0: D3F30060 1D823D6E
	buffer_load_dword v59, s[20:23], 0 offen lds               // 000000003EA8: E0511000 8005003B
	s_add_u32 m0, 0, s50                                       // 000000003EB0: 807C3280
	v_mfma_f32_16x16x32_fp8_fp8 v[80:83], a[96:97], a[32:33], v[80:83]// 000000003EB4: D3F30050 1D424160
	v_mfma_f32_16x16x32_fp8_fp8 v[80:83], a[98:99], a[34:35], v[80:83]// 000000003EBC: D3F30050 1D424562
	v_mfma_f32_16x16x32_fp8_fp8 v[80:83], a[100:101], a[36:37], v[80:83]// 000000003EC4: D3F30050 1D424964
	v_mfma_f32_16x16x32_fp8_fp8 v[80:83], a[102:103], a[38:39], v[80:83]// 000000003ECC: D3F30050 1D424D66
	v_mfma_f32_16x16x32_fp8_fp8 v[100:103], a[104:105], a[32:33], v[100:103]// 000000003ED4: D3F30064 1D924168
	v_mfma_f32_16x16x32_fp8_fp8 v[100:103], a[106:107], a[34:35], v[100:103]// 000000003EDC: D3F30064 1D92456A
	v_mfma_f32_16x16x32_fp8_fp8 v[100:103], a[108:109], a[36:37], v[100:103]// 000000003EE4: D3F30064 1D92496C
	v_mfma_f32_16x16x32_fp8_fp8 v[100:103], a[110:111], a[38:39], v[100:103]// 000000003EEC: D3F30064 1D924D6E
	s_waitcnt vmcnt(14)                                        // 000000003EF4: BF8C0F7E
	s_barrier                                                  // 000000003EF8: BF8A0000
	v_mfma_f32_16x16x32_fp8_fp8 v[104:107], a[112:113], a[0:1], v[104:107]// 000000003EFC: D3F30068 1DA20170
	v_mfma_f32_16x16x32_fp8_fp8 v[104:107], a[114:115], a[2:3], v[104:107]// 000000003F04: D3F30068 1DA20572
	buffer_load_dwordx4 a[96:99], v60, s[84:87], 0 offen       // 000000003F0C: E05C1000 8095603C
	v_mfma_f32_16x16x32_fp8_fp8 v[104:107], a[116:117], a[4:5], v[104:107]// 000000003F14: D3F30068 1DA20974
	v_mfma_f32_16x16x32_fp8_fp8 v[104:107], a[118:119], a[6:7], v[104:107]// 000000003F1C: D3F30068 1DA20D76
	ds_read_b128 a[40:43], v2                                  // 000000003F24: DBFE0000 28000002
	ds_read_b128 a[44:47], v2 offset:64                        // 000000003F2C: DBFE0040 2C000002
	v_mfma_f32_16x16x32_fp8_fp8 v[124:127], a[120:121], a[0:1], v[124:127]// 000000003F34: D3F3007C 1DF20178
	v_mfma_f32_16x16x32_fp8_fp8 v[124:127], a[122:123], a[2:3], v[124:127]// 000000003F3C: D3F3007C 1DF2057A
	buffer_load_dwordx4 a[100:103], v60, s[84:87], 0 offen offset:1024// 000000003F44: E05C1400 8095643C
	v_mfma_f32_16x16x32_fp8_fp8 v[124:127], a[124:125], a[4:5], v[124:127]// 000000003F4C: D3F3007C 1DF2097C
	v_mfma_f32_16x16x32_fp8_fp8 v[124:127], a[126:127], a[6:7], v[124:127]// 000000003F54: D3F3007C 1DF20D7E
	ds_read_b128 a[48:51], v2 offset:512                       // 000000003F5C: DBFE0200 30000002
	ds_read_b128 a[52:55], v2 offset:576                       // 000000003F64: DBFE0240 34000002
	v_mfma_f32_16x16x32_fp8_fp8 v[108:111], a[112:113], a[8:9], v[108:111]// 000000003F6C: D3F3006C 1DB21170
	v_mfma_f32_16x16x32_fp8_fp8 v[108:111], a[114:115], a[10:11], v[108:111]// 000000003F74: D3F3006C 1DB21572
	buffer_load_dwordx4 a[104:107], v61, s[84:87], 0 offen     // 000000003F7C: E05C1000 8095683D
	v_mfma_f32_16x16x32_fp8_fp8 v[108:111], a[116:117], a[12:13], v[108:111]// 000000003F84: D3F3006C 1DB21974
	v_mfma_f32_16x16x32_fp8_fp8 v[108:111], a[118:119], a[14:15], v[108:111]// 000000003F8C: D3F3006C 1DB21D76
	ds_read_b128 a[56:59], v2 offset:1024                      // 000000003F94: DBFE0400 38000002
	ds_read_b128 a[60:63], v2 offset:1088                      // 000000003F9C: DBFE0440 3C000002
	v_mfma_f32_16x16x32_fp8_fp8 v[128:131], a[120:121], a[8:9], v[128:131]// 000000003FA4: D3F30080 1E021178
	v_mfma_f32_16x16x32_fp8_fp8 v[128:131], a[122:123], a[10:11], v[128:131]// 000000003FAC: D3F30080 1E02157A
	buffer_load_dwordx4 a[108:111], v61, s[84:87], 0 offen offset:1024// 000000003FB4: E05C1400 80956C3D
	v_mfma_f32_16x16x32_fp8_fp8 v[128:131], a[124:125], a[12:13], v[128:131]// 000000003FBC: D3F30080 1E02197C
	v_mfma_f32_16x16x32_fp8_fp8 v[128:131], a[126:127], a[14:15], v[128:131]// 000000003FC4: D3F30080 1E021D7E
	ds_read_b128 a[64:67], v2 offset:1536                      // 000000003FCC: DBFE0600 40000002
	ds_read_b128 a[68:71], v2 offset:1600                      // 000000003FD4: DBFE0640 44000002
	v_mfma_f32_16x16x32_fp8_fp8 v[112:115], a[112:113], a[16:17], v[112:115]// 000000003FDC: D3F30070 1DC22170
	v_mfma_f32_16x16x32_fp8_fp8 v[112:115], a[114:115], a[18:19], v[112:115]// 000000003FE4: D3F30070 1DC22572
	v_mfma_f32_16x16x32_fp8_fp8 v[112:115], a[116:117], a[20:21], v[112:115]// 000000003FEC: D3F30070 1DC22974
	v_mfma_f32_16x16x32_fp8_fp8 v[112:115], a[118:119], a[22:23], v[112:115]// 000000003FF4: D3F30070 1DC22D76
	ds_read_b128 a[72:75], v2 offset:2048                      // 000000003FFC: DBFE0800 48000002
	ds_read_b128 a[76:79], v2 offset:2112                      // 000000004004: DBFE0840 4C000002
	v_mfma_f32_16x16x32_fp8_fp8 v[132:135], a[120:121], a[16:17], v[132:135]// 00000000400C: D3F30084 1E122178
	v_mfma_f32_16x16x32_fp8_fp8 v[132:135], a[122:123], a[18:19], v[132:135]// 000000004014: D3F30084 1E12257A
	v_mfma_f32_16x16x32_fp8_fp8 v[132:135], a[124:125], a[20:21], v[132:135]// 00000000401C: D3F30084 1E12297C
	v_mfma_f32_16x16x32_fp8_fp8 v[132:135], a[126:127], a[22:23], v[132:135]// 000000004024: D3F30084 1E122D7E
	v_mfma_f32_16x16x32_fp8_fp8 v[116:119], a[112:113], a[24:25], v[116:119]// 00000000402C: D3F30074 1DD23170
	v_mfma_f32_16x16x32_fp8_fp8 v[116:119], a[114:115], a[26:27], v[116:119]// 000000004034: D3F30074 1DD23572
	v_mfma_f32_16x16x32_fp8_fp8 v[116:119], a[116:117], a[28:29], v[116:119]// 00000000403C: D3F30074 1DD23974
	v_mfma_f32_16x16x32_fp8_fp8 v[116:119], a[118:119], a[30:31], v[116:119]// 000000004044: D3F30074 1DD23D76
	v_mfma_f32_16x16x32_fp8_fp8 v[136:139], a[120:121], a[24:25], v[136:139]// 00000000404C: D3F30088 1E223178
	v_mfma_f32_16x16x32_fp8_fp8 v[136:139], a[122:123], a[26:27], v[136:139]// 000000004054: D3F30088 1E22357A
	v_mfma_f32_16x16x32_fp8_fp8 v[136:139], a[124:125], a[28:29], v[136:139]// 00000000405C: D3F30088 1E22397C
	v_mfma_f32_16x16x32_fp8_fp8 v[136:139], a[126:127], a[30:31], v[136:139]// 000000004064: D3F30088 1E223D7E
	v_mfma_f32_16x16x32_fp8_fp8 v[120:123], a[112:113], a[32:33], v[120:123]// 00000000406C: D3F30078 1DE24170
	s_add_u32 s60, 0x180, s80                                  // 000000004074: 803C50FF 00000180
	s_cmp_lt_u32 s60, s81                                      // 00000000407C: BF0A513C
	s_cselect_b32 s57, s57, 0                                  // 000000004080: 85398039
	v_mfma_f32_16x16x32_fp8_fp8 v[120:123], a[114:115], a[34:35], v[120:123]// 000000004084: D3F30078 1DE24572
	s_add_u32 s60, 0x100, s80                                  // 00000000408C: 803C50FF 00000100
	s_cmp_lt_u32 s60, s81                                      // 000000004094: BF0A513C
	s_cselect_b32 s58, s58, 0                                  // 000000004098: 853A803A
	v_mfma_f32_16x16x32_fp8_fp8 v[120:123], a[116:117], a[36:37], v[120:123]// 00000000409C: D3F30078 1DE24974
	s_add_u32 s60, 0x100, s80                                  // 0000000040A4: 803C50FF 00000100
	s_cmp_lt_u32 s60, s81                                      // 0000000040AC: BF0A513C
	s_cselect_b32 s83, s83, 0                                  // 0000000040B0: 85538053
	v_mfma_f32_16x16x32_fp8_fp8 v[120:123], a[118:119], a[38:39], v[120:123]// 0000000040B4: D3F30078 1DE24D76
	s_add_u32 s24, s58, s24                                    // 0000000040BC: 8018183A
	s_addc_u32 s25, 0, s25                                     // 0000000040C0: 82191980
	v_mfma_f32_16x16x32_fp8_fp8 v[140:143], a[120:121], a[32:33], v[140:143]// 0000000040C4: D3F3008C 1E324178
	s_add_u32 s20, s57, s20                                    // 0000000040CC: 80141439
	s_addc_u32 s21, 0, s21                                     // 0000000040D0: 82151580
	v_mfma_f32_16x16x32_fp8_fp8 v[140:143], a[122:123], a[34:35], v[140:143]// 0000000040D4: D3F3008C 1E32457A
	s_add_u32 s84, s83, s84                                    // 0000000040DC: 80545453
	s_addc_u32 s85, 0, s85                                     // 0000000040E0: 82555580
	v_mfma_f32_16x16x32_fp8_fp8 v[140:143], a[124:125], a[36:37], v[140:143]// 0000000040E4: D3F3008C 1E32497C
	v_mfma_f32_16x16x32_fp8_fp8 v[140:143], a[126:127], a[38:39], v[140:143]// 0000000040EC: D3F3008C 1E324D7E
	s_addk_i32 s80, 0x80                                       // 0000000040F4: B7500080
	s_cmp_lt_i32 s80, s81                                      // 0000000040F8: BF045150
	s_cbranch_scc0 label_08CA                                  // 0000000040FC: BF84030A
	s_waitcnt vmcnt(14) lgkmcnt(0)                             // 000000004100: BF8C007E
	v_mfma_f32_16x16x32_fp8_fp8 v[64:67], a[80:81], a[40:41], v[64:67]// 000000004104: D3F30040 1D025150
	v_mfma_f32_16x16x32_fp8_fp8 v[64:67], a[82:83], a[42:43], v[64:67]// 00000000410C: D3F30040 1D025552
	buffer_load_dwordx4 a[112:115], v60, s[24:27], 0 offen     // 000000004114: E05C1000 8086703C
	v_mfma_f32_16x16x32_fp8_fp8 v[64:67], a[84:85], a[44:45], v[64:67]// 00000000411C: D3F30040 1D025954
	v_mfma_f32_16x16x32_fp8_fp8 v[64:67], a[86:87], a[46:47], v[64:67]// 000000004124: D3F30040 1D025D56
	v_mfma_f32_16x16x32_fp8_fp8 v[84:87], a[88:89], a[40:41], v[84:87]// 00000000412C: D3F30054 1D525158
	v_mfma_f32_16x16x32_fp8_fp8 v[84:87], a[90:91], a[42:43], v[84:87]// 000000004134: D3F30054 1D52555A
	buffer_load_dwordx4 a[116:119], v60, s[24:27], 0 offen offset:1024// 00000000413C: E05C1400 8086743C
	v_mfma_f32_16x16x32_fp8_fp8 v[84:87], a[92:93], a[44:45], v[84:87]// 000000004144: D3F30054 1D52595C
	v_mfma_f32_16x16x32_fp8_fp8 v[84:87], a[94:95], a[46:47], v[84:87]// 00000000414C: D3F30054 1D525D5E
	v_mfma_f32_16x16x32_fp8_fp8 v[68:71], a[80:81], a[48:49], v[68:71]// 000000004154: D3F30044 1D126150
	v_mfma_f32_16x16x32_fp8_fp8 v[68:71], a[82:83], a[50:51], v[68:71]// 00000000415C: D3F30044 1D126552
	buffer_load_dwordx4 a[120:123], v61, s[24:27], 0 offen     // 000000004164: E05C1000 8086783D
	v_mfma_f32_16x16x32_fp8_fp8 v[68:71], a[84:85], a[52:53], v[68:71]// 00000000416C: D3F30044 1D126954
	v_mfma_f32_16x16x32_fp8_fp8 v[68:71], a[86:87], a[54:55], v[68:71]// 000000004174: D3F30044 1D126D56
	v_mfma_f32_16x16x32_fp8_fp8 v[88:91], a[88:89], a[48:49], v[88:91]// 00000000417C: D3F30058 1D626158
	v_mfma_f32_16x16x32_fp8_fp8 v[88:91], a[90:91], a[50:51], v[88:91]// 000000004184: D3F30058 1D62655A
	buffer_load_dwordx4 a[124:127], v61, s[24:27], 0 offen offset:1024// 00000000418C: E05C1400 80867C3D
	buffer_load_dword v50, s[20:23], 0 offen lds               // 000000004194: E0511000 80050032
	s_add_u32 m0, 0x100, s50                                   // 00000000419C: 807C32FF 00000100
	v_mfma_f32_16x16x32_fp8_fp8 v[88:91], a[92:93], a[52:53], v[88:91]// 0000000041A4: D3F30058 1D62695C
	v_mfma_f32_16x16x32_fp8_fp8 v[88:91], a[94:95], a[54:55], v[88:91]// 0000000041AC: D3F30058 1D626D5E
	buffer_load_dword v51, s[20:23], 0 offen lds               // 0000000041B4: E0511000 80050033
	s_add_u32 m0, 0x200, s50                                   // 0000000041BC: 807C32FF 00000200
	v_mfma_f32_16x16x32_fp8_fp8 v[72:75], a[80:81], a[56:57], v[72:75]// 0000000041C4: D3F30048 1D227150
	v_mfma_f32_16x16x32_fp8_fp8 v[72:75], a[82:83], a[58:59], v[72:75]// 0000000041CC: D3F30048 1D227552
	buffer_load_dword v52, s[20:23], 0 offen lds               // 0000000041D4: E0511000 80050034
	s_add_u32 m0, 0x300, s50                                   // 0000000041DC: 807C32FF 00000300
	v_mfma_f32_16x16x32_fp8_fp8 v[72:75], a[84:85], a[60:61], v[72:75]// 0000000041E4: D3F30048 1D227954
	v_mfma_f32_16x16x32_fp8_fp8 v[72:75], a[86:87], a[62:63], v[72:75]// 0000000041EC: D3F30048 1D227D56
	buffer_load_dword v53, s[20:23], 0 offen lds               // 0000000041F4: E0511000 80050035
	s_add_u32 m0, 0x400, s50                                   // 0000000041FC: 807C32FF 00000400
	v_mfma_f32_16x16x32_fp8_fp8 v[92:95], a[88:89], a[56:57], v[92:95]// 000000004204: D3F3005C 1D727158
	v_mfma_f32_16x16x32_fp8_fp8 v[92:95], a[90:91], a[58:59], v[92:95]// 00000000420C: D3F3005C 1D72755A
	buffer_load_dword v54, s[20:23], 0 offen lds               // 000000004214: E0511000 80050036
	s_add_u32 m0, 0x500, s50                                   // 00000000421C: 807C32FF 00000500
	v_mfma_f32_16x16x32_fp8_fp8 v[92:95], a[92:93], a[60:61], v[92:95]// 000000004224: D3F3005C 1D72795C
	v_mfma_f32_16x16x32_fp8_fp8 v[92:95], a[94:95], a[62:63], v[92:95]// 00000000422C: D3F3005C 1D727D5E
	buffer_load_dword v55, s[20:23], 0 offen lds               // 000000004234: E0511000 80050037
	s_add_u32 m0, 0x600, s50                                   // 00000000423C: 807C32FF 00000600
	v_mfma_f32_16x16x32_fp8_fp8 v[76:79], a[80:81], a[64:65], v[76:79]// 000000004244: D3F3004C 1D328150
	v_mfma_f32_16x16x32_fp8_fp8 v[76:79], a[82:83], a[66:67], v[76:79]// 00000000424C: D3F3004C 1D328552
	buffer_load_dword v56, s[20:23], 0 offen lds               // 000000004254: E0511000 80050038
	s_add_u32 m0, 0x700, s50                                   // 00000000425C: 807C32FF 00000700
	v_mfma_f32_16x16x32_fp8_fp8 v[76:79], a[84:85], a[68:69], v[76:79]// 000000004264: D3F3004C 1D328954
	v_mfma_f32_16x16x32_fp8_fp8 v[76:79], a[86:87], a[70:71], v[76:79]// 00000000426C: D3F3004C 1D328D56
	buffer_load_dword v57, s[20:23], 0 offen lds               // 000000004274: E0511000 80050039
	s_add_u32 m0, 0x800, s50                                   // 00000000427C: 807C32FF 00000800
	v_mfma_f32_16x16x32_fp8_fp8 v[96:99], a[88:89], a[64:65], v[96:99]// 000000004284: D3F30060 1D828158
	v_mfma_f32_16x16x32_fp8_fp8 v[96:99], a[90:91], a[66:67], v[96:99]// 00000000428C: D3F30060 1D82855A
	buffer_load_dword v58, s[20:23], 0 offen lds               // 000000004294: E0511000 8005003A
	s_add_u32 m0, 0x900, s50                                   // 00000000429C: 807C32FF 00000900
	v_mfma_f32_16x16x32_fp8_fp8 v[96:99], a[92:93], a[68:69], v[96:99]// 0000000042A4: D3F30060 1D82895C
	v_mfma_f32_16x16x32_fp8_fp8 v[96:99], a[94:95], a[70:71], v[96:99]// 0000000042AC: D3F30060 1D828D5E
	buffer_load_dword v59, s[20:23], 0 offen lds               // 0000000042B4: E0511000 8005003B
	s_add_u32 m0, 0, s48                                       // 0000000042BC: 807C3080
	v_mfma_f32_16x16x32_fp8_fp8 v[80:83], a[80:81], a[72:73], v[80:83]// 0000000042C0: D3F30050 1D429150
	v_mfma_f32_16x16x32_fp8_fp8 v[80:83], a[82:83], a[74:75], v[80:83]// 0000000042C8: D3F30050 1D429552
	v_mfma_f32_16x16x32_fp8_fp8 v[80:83], a[84:85], a[76:77], v[80:83]// 0000000042D0: D3F30050 1D429954
	v_mfma_f32_16x16x32_fp8_fp8 v[80:83], a[86:87], a[78:79], v[80:83]// 0000000042D8: D3F30050 1D429D56
	v_mfma_f32_16x16x32_fp8_fp8 v[100:103], a[88:89], a[72:73], v[100:103]// 0000000042E0: D3F30064 1D929158
	v_mfma_f32_16x16x32_fp8_fp8 v[100:103], a[90:91], a[74:75], v[100:103]// 0000000042E8: D3F30064 1D92955A
	v_mfma_f32_16x16x32_fp8_fp8 v[100:103], a[92:93], a[76:77], v[100:103]// 0000000042F0: D3F30064 1D92995C
	v_mfma_f32_16x16x32_fp8_fp8 v[100:103], a[94:95], a[78:79], v[100:103]// 0000000042F8: D3F30064 1D929D5E
	s_waitcnt vmcnt(14)                                        // 000000004300: BF8C0F7E
	s_barrier                                                  // 000000004304: BF8A0000
	v_mfma_f32_16x16x32_fp8_fp8 v[104:107], a[96:97], a[40:41], v[104:107]// 000000004308: D3F30068 1DA25160
	v_mfma_f32_16x16x32_fp8_fp8 v[104:107], a[98:99], a[42:43], v[104:107]// 000000004310: D3F30068 1DA25562
	buffer_load_dwordx4 a[80:83], v60, s[84:87], 0 offen       // 000000004318: E05C1000 8095503C
	v_mfma_f32_16x16x32_fp8_fp8 v[104:107], a[100:101], a[44:45], v[104:107]// 000000004320: D3F30068 1DA25964
	v_mfma_f32_16x16x32_fp8_fp8 v[104:107], a[102:103], a[46:47], v[104:107]// 000000004328: D3F30068 1DA25D66
	ds_read_b128 a[0:3], v2 offset:10368                       // 000000004330: DBFE2880 00000002
	ds_read_b128 a[4:7], v2 offset:10432                       // 000000004338: DBFE28C0 04000002
	v_mfma_f32_16x16x32_fp8_fp8 v[124:127], a[104:105], a[40:41], v[124:127]// 000000004340: D3F3007C 1DF25168
	v_mfma_f32_16x16x32_fp8_fp8 v[124:127], a[106:107], a[42:43], v[124:127]// 000000004348: D3F3007C 1DF2556A
	buffer_load_dwordx4 a[84:87], v60, s[84:87], 0 offen offset:1024// 000000004350: E05C1400 8095543C
	v_mfma_f32_16x16x32_fp8_fp8 v[124:127], a[108:109], a[44:45], v[124:127]// 000000004358: D3F3007C 1DF2596C
	v_mfma_f32_16x16x32_fp8_fp8 v[124:127], a[110:111], a[46:47], v[124:127]// 000000004360: D3F3007C 1DF25D6E
	ds_read_b128 a[8:11], v2 offset:10880                      // 000000004368: DBFE2A80 08000002
	ds_read_b128 a[12:15], v2 offset:10944                     // 000000004370: DBFE2AC0 0C000002
	v_mfma_f32_16x16x32_fp8_fp8 v[108:111], a[96:97], a[48:49], v[108:111]// 000000004378: D3F3006C 1DB26160
	v_mfma_f32_16x16x32_fp8_fp8 v[108:111], a[98:99], a[50:51], v[108:111]// 000000004380: D3F3006C 1DB26562
	buffer_load_dwordx4 a[88:91], v61, s[84:87], 0 offen       // 000000004388: E05C1000 8095583D
	v_mfma_f32_16x16x32_fp8_fp8 v[108:111], a[100:101], a[52:53], v[108:111]// 000000004390: D3F3006C 1DB26964
	v_mfma_f32_16x16x32_fp8_fp8 v[108:111], a[102:103], a[54:55], v[108:111]// 000000004398: D3F3006C 1DB26D66
	ds_read_b128 a[16:19], v2 offset:11392                     // 0000000043A0: DBFE2C80 10000002
	ds_read_b128 a[20:23], v2 offset:11456                     // 0000000043A8: DBFE2CC0 14000002
	v_mfma_f32_16x16x32_fp8_fp8 v[128:131], a[104:105], a[48:49], v[128:131]// 0000000043B0: D3F30080 1E026168
	v_mfma_f32_16x16x32_fp8_fp8 v[128:131], a[106:107], a[50:51], v[128:131]// 0000000043B8: D3F30080 1E02656A
	buffer_load_dwordx4 a[92:95], v61, s[84:87], 0 offen offset:1024// 0000000043C0: E05C1400 80955C3D
	v_mfma_f32_16x16x32_fp8_fp8 v[128:131], a[108:109], a[52:53], v[128:131]// 0000000043C8: D3F30080 1E02696C
	v_mfma_f32_16x16x32_fp8_fp8 v[128:131], a[110:111], a[54:55], v[128:131]// 0000000043D0: D3F30080 1E026D6E
	ds_read_b128 a[24:27], v2 offset:11904                     // 0000000043D8: DBFE2E80 18000002
	ds_read_b128 a[28:31], v2 offset:11968                     // 0000000043E0: DBFE2EC0 1C000002
	v_mfma_f32_16x16x32_fp8_fp8 v[112:115], a[96:97], a[56:57], v[112:115]// 0000000043E8: D3F30070 1DC27160
	v_mfma_f32_16x16x32_fp8_fp8 v[112:115], a[98:99], a[58:59], v[112:115]// 0000000043F0: D3F30070 1DC27562
	v_mfma_f32_16x16x32_fp8_fp8 v[112:115], a[100:101], a[60:61], v[112:115]// 0000000043F8: D3F30070 1DC27964
	v_mfma_f32_16x16x32_fp8_fp8 v[112:115], a[102:103], a[62:63], v[112:115]// 000000004400: D3F30070 1DC27D66
	ds_read_b128 a[32:35], v2 offset:12416                     // 000000004408: DBFE3080 20000002
	ds_read_b128 a[36:39], v2 offset:12480                     // 000000004410: DBFE30C0 24000002
	v_mfma_f32_16x16x32_fp8_fp8 v[132:135], a[104:105], a[56:57], v[132:135]// 000000004418: D3F30084 1E127168
	v_mfma_f32_16x16x32_fp8_fp8 v[132:135], a[106:107], a[58:59], v[132:135]// 000000004420: D3F30084 1E12756A
	v_mfma_f32_16x16x32_fp8_fp8 v[132:135], a[108:109], a[60:61], v[132:135]// 000000004428: D3F30084 1E12796C
	v_mfma_f32_16x16x32_fp8_fp8 v[132:135], a[110:111], a[62:63], v[132:135]// 000000004430: D3F30084 1E127D6E
	v_mfma_f32_16x16x32_fp8_fp8 v[116:119], a[96:97], a[64:65], v[116:119]// 000000004438: D3F30074 1DD28160
	v_mfma_f32_16x16x32_fp8_fp8 v[116:119], a[98:99], a[66:67], v[116:119]// 000000004440: D3F30074 1DD28562
	v_mfma_f32_16x16x32_fp8_fp8 v[116:119], a[100:101], a[68:69], v[116:119]// 000000004448: D3F30074 1DD28964
	v_mfma_f32_16x16x32_fp8_fp8 v[116:119], a[102:103], a[70:71], v[116:119]// 000000004450: D3F30074 1DD28D66
	v_mfma_f32_16x16x32_fp8_fp8 v[136:139], a[104:105], a[64:65], v[136:139]// 000000004458: D3F30088 1E228168
	v_mfma_f32_16x16x32_fp8_fp8 v[136:139], a[106:107], a[66:67], v[136:139]// 000000004460: D3F30088 1E22856A
	v_mfma_f32_16x16x32_fp8_fp8 v[136:139], a[108:109], a[68:69], v[136:139]// 000000004468: D3F30088 1E22896C
	v_mfma_f32_16x16x32_fp8_fp8 v[136:139], a[110:111], a[70:71], v[136:139]// 000000004470: D3F30088 1E228D6E
	v_mfma_f32_16x16x32_fp8_fp8 v[120:123], a[96:97], a[72:73], v[120:123]// 000000004478: D3F30078 1DE29160
	s_add_u32 s60, 0x180, s80                                  // 000000004480: 803C50FF 00000180
	s_cmp_lt_u32 s60, s81                                      // 000000004488: BF0A513C
	s_cselect_b32 s57, s57, 0                                  // 00000000448C: 85398039
	v_mfma_f32_16x16x32_fp8_fp8 v[120:123], a[98:99], a[74:75], v[120:123]// 000000004490: D3F30078 1DE29562
	s_add_u32 s60, 0x100, s80                                  // 000000004498: 803C50FF 00000100
	s_cmp_lt_u32 s60, s81                                      // 0000000044A0: BF0A513C
	s_cselect_b32 s58, s58, 0                                  // 0000000044A4: 853A803A
	v_mfma_f32_16x16x32_fp8_fp8 v[120:123], a[100:101], a[76:77], v[120:123]// 0000000044A8: D3F30078 1DE29964
	s_add_u32 s60, 0x100, s80                                  // 0000000044B0: 803C50FF 00000100
	s_cmp_lt_u32 s60, s81                                      // 0000000044B8: BF0A513C
	s_cselect_b32 s83, s83, 0                                  // 0000000044BC: 85538053
	v_mfma_f32_16x16x32_fp8_fp8 v[120:123], a[102:103], a[78:79], v[120:123]// 0000000044C0: D3F30078 1DE29D66
	s_add_u32 s24, s58, s24                                    // 0000000044C8: 8018183A
	s_addc_u32 s25, 0, s25                                     // 0000000044CC: 82191980
	v_mfma_f32_16x16x32_fp8_fp8 v[140:143], a[104:105], a[72:73], v[140:143]// 0000000044D0: D3F3008C 1E329168
	s_add_u32 s20, s57, s20                                    // 0000000044D8: 80141439
	s_addc_u32 s21, 0, s21                                     // 0000000044DC: 82151580
	v_mfma_f32_16x16x32_fp8_fp8 v[140:143], a[106:107], a[74:75], v[140:143]// 0000000044E0: D3F3008C 1E32956A
	s_add_u32 s84, s83, s84                                    // 0000000044E8: 80545453
	s_addc_u32 s85, 0, s85                                     // 0000000044EC: 82555580
	v_mfma_f32_16x16x32_fp8_fp8 v[140:143], a[108:109], a[76:77], v[140:143]// 0000000044F0: D3F3008C 1E32996C
	v_mfma_f32_16x16x32_fp8_fp8 v[140:143], a[110:111], a[78:79], v[140:143]// 0000000044F8: D3F3008C 1E329D6E
	s_addk_i32 s80, 0x80                                       // 000000004500: B7500080
	s_cmp_lt_i32 s80, s81                                      // 000000004504: BF045150
	s_cbranch_scc0 label_08CA                                  // 000000004508: BF840207
	s_waitcnt vmcnt(14) lgkmcnt(0)                             // 00000000450C: BF8C007E
	v_mfma_f32_16x16x32_fp8_fp8 v[64:67], a[112:113], a[0:1], v[64:67]// 000000004510: D3F30040 1D020170
	v_mfma_f32_16x16x32_fp8_fp8 v[64:67], a[114:115], a[2:3], v[64:67]// 000000004518: D3F30040 1D020572
	buffer_load_dwordx4 a[96:99], v60, s[24:27], 0 offen       // 000000004520: E05C1000 8086603C
	v_mfma_f32_16x16x32_fp8_fp8 v[64:67], a[116:117], a[4:5], v[64:67]// 000000004528: D3F30040 1D020974
	v_mfma_f32_16x16x32_fp8_fp8 v[64:67], a[118:119], a[6:7], v[64:67]// 000000004530: D3F30040 1D020D76
	v_mfma_f32_16x16x32_fp8_fp8 v[84:87], a[120:121], a[0:1], v[84:87]// 000000004538: D3F30054 1D520178
	v_mfma_f32_16x16x32_fp8_fp8 v[84:87], a[122:123], a[2:3], v[84:87]// 000000004540: D3F30054 1D52057A
	buffer_load_dwordx4 a[100:103], v60, s[24:27], 0 offen offset:1024// 000000004548: E05C1400 8086643C
	v_mfma_f32_16x16x32_fp8_fp8 v[84:87], a[124:125], a[4:5], v[84:87]// 000000004550: D3F30054 1D52097C
	v_mfma_f32_16x16x32_fp8_fp8 v[84:87], a[126:127], a[6:7], v[84:87]// 000000004558: D3F30054 1D520D7E
	v_mfma_f32_16x16x32_fp8_fp8 v[68:71], a[112:113], a[8:9], v[68:71]// 000000004560: D3F30044 1D121170
	v_mfma_f32_16x16x32_fp8_fp8 v[68:71], a[114:115], a[10:11], v[68:71]// 000000004568: D3F30044 1D121572
	buffer_load_dwordx4 a[104:107], v61, s[24:27], 0 offen     // 000000004570: E05C1000 8086683D
	v_mfma_f32_16x16x32_fp8_fp8 v[68:71], a[116:117], a[12:13], v[68:71]// 000000004578: D3F30044 1D121974
	v_mfma_f32_16x16x32_fp8_fp8 v[68:71], a[118:119], a[14:15], v[68:71]// 000000004580: D3F30044 1D121D76
	v_mfma_f32_16x16x32_fp8_fp8 v[88:91], a[120:121], a[8:9], v[88:91]// 000000004588: D3F30058 1D621178
	v_mfma_f32_16x16x32_fp8_fp8 v[88:91], a[122:123], a[10:11], v[88:91]// 000000004590: D3F30058 1D62157A
	buffer_load_dwordx4 a[108:111], v61, s[24:27], 0 offen offset:1024// 000000004598: E05C1400 80866C3D
	buffer_load_dword v50, s[20:23], 0 offen lds               // 0000000045A0: E0511000 80050032
	s_add_u32 m0, 0x100, s48                                   // 0000000045A8: 807C30FF 00000100
	v_mfma_f32_16x16x32_fp8_fp8 v[88:91], a[124:125], a[12:13], v[88:91]// 0000000045B0: D3F30058 1D62197C
	v_mfma_f32_16x16x32_fp8_fp8 v[88:91], a[126:127], a[14:15], v[88:91]// 0000000045B8: D3F30058 1D621D7E
	buffer_load_dword v51, s[20:23], 0 offen lds               // 0000000045C0: E0511000 80050033
	s_add_u32 m0, 0x200, s48                                   // 0000000045C8: 807C30FF 00000200
	v_mfma_f32_16x16x32_fp8_fp8 v[72:75], a[112:113], a[16:17], v[72:75]// 0000000045D0: D3F30048 1D222170
	v_mfma_f32_16x16x32_fp8_fp8 v[72:75], a[114:115], a[18:19], v[72:75]// 0000000045D8: D3F30048 1D222572
	buffer_load_dword v52, s[20:23], 0 offen lds               // 0000000045E0: E0511000 80050034
	s_add_u32 m0, 0x300, s48                                   // 0000000045E8: 807C30FF 00000300
	v_mfma_f32_16x16x32_fp8_fp8 v[72:75], a[116:117], a[20:21], v[72:75]// 0000000045F0: D3F30048 1D222974
	v_mfma_f32_16x16x32_fp8_fp8 v[72:75], a[118:119], a[22:23], v[72:75]// 0000000045F8: D3F30048 1D222D76
	buffer_load_dword v53, s[20:23], 0 offen lds               // 000000004600: E0511000 80050035
	s_add_u32 m0, 0x400, s48                                   // 000000004608: 807C30FF 00000400
	v_mfma_f32_16x16x32_fp8_fp8 v[92:95], a[120:121], a[16:17], v[92:95]// 000000004610: D3F3005C 1D722178
	v_mfma_f32_16x16x32_fp8_fp8 v[92:95], a[122:123], a[18:19], v[92:95]// 000000004618: D3F3005C 1D72257A
	buffer_load_dword v54, s[20:23], 0 offen lds               // 000000004620: E0511000 80050036
	s_add_u32 m0, 0x500, s48                                   // 000000004628: 807C30FF 00000500
	v_mfma_f32_16x16x32_fp8_fp8 v[92:95], a[124:125], a[20:21], v[92:95]// 000000004630: D3F3005C 1D72297C
	v_mfma_f32_16x16x32_fp8_fp8 v[92:95], a[126:127], a[22:23], v[92:95]// 000000004638: D3F3005C 1D722D7E
	buffer_load_dword v55, s[20:23], 0 offen lds               // 000000004640: E0511000 80050037
	s_add_u32 m0, 0x600, s48                                   // 000000004648: 807C30FF 00000600
	v_mfma_f32_16x16x32_fp8_fp8 v[76:79], a[112:113], a[24:25], v[76:79]// 000000004650: D3F3004C 1D323170
	v_mfma_f32_16x16x32_fp8_fp8 v[76:79], a[114:115], a[26:27], v[76:79]// 000000004658: D3F3004C 1D323572
	buffer_load_dword v56, s[20:23], 0 offen lds               // 000000004660: E0511000 80050038
	s_add_u32 m0, 0x700, s48                                   // 000000004668: 807C30FF 00000700
	v_mfma_f32_16x16x32_fp8_fp8 v[76:79], a[116:117], a[28:29], v[76:79]// 000000004670: D3F3004C 1D323974
	v_mfma_f32_16x16x32_fp8_fp8 v[76:79], a[118:119], a[30:31], v[76:79]// 000000004678: D3F3004C 1D323D76
	buffer_load_dword v57, s[20:23], 0 offen lds               // 000000004680: E0511000 80050039
	s_add_u32 m0, 0x800, s48                                   // 000000004688: 807C30FF 00000800
	v_mfma_f32_16x16x32_fp8_fp8 v[96:99], a[120:121], a[24:25], v[96:99]// 000000004690: D3F30060 1D823178
	v_mfma_f32_16x16x32_fp8_fp8 v[96:99], a[122:123], a[26:27], v[96:99]// 000000004698: D3F30060 1D82357A
	buffer_load_dword v58, s[20:23], 0 offen lds               // 0000000046A0: E0511000 8005003A
	s_add_u32 m0, 0x900, s48                                   // 0000000046A8: 807C30FF 00000900
	v_mfma_f32_16x16x32_fp8_fp8 v[96:99], a[124:125], a[28:29], v[96:99]// 0000000046B0: D3F30060 1D82397C
	v_mfma_f32_16x16x32_fp8_fp8 v[96:99], a[126:127], a[30:31], v[96:99]// 0000000046B8: D3F30060 1D823D7E
	buffer_load_dword v59, s[20:23], 0 offen lds               // 0000000046C0: E0511000 8005003B
	s_add_u32 m0, 0, s49                                       // 0000000046C8: 807C3180
	v_mfma_f32_16x16x32_fp8_fp8 v[80:83], a[112:113], a[32:33], v[80:83]// 0000000046CC: D3F30050 1D424170
	v_mfma_f32_16x16x32_fp8_fp8 v[80:83], a[114:115], a[34:35], v[80:83]// 0000000046D4: D3F30050 1D424572
	v_mfma_f32_16x16x32_fp8_fp8 v[80:83], a[116:117], a[36:37], v[80:83]// 0000000046DC: D3F30050 1D424974
	v_mfma_f32_16x16x32_fp8_fp8 v[80:83], a[118:119], a[38:39], v[80:83]// 0000000046E4: D3F30050 1D424D76
	v_mfma_f32_16x16x32_fp8_fp8 v[100:103], a[120:121], a[32:33], v[100:103]// 0000000046EC: D3F30064 1D924178
	v_mfma_f32_16x16x32_fp8_fp8 v[100:103], a[122:123], a[34:35], v[100:103]// 0000000046F4: D3F30064 1D92457A
	v_mfma_f32_16x16x32_fp8_fp8 v[100:103], a[124:125], a[36:37], v[100:103]// 0000000046FC: D3F30064 1D92497C
	v_mfma_f32_16x16x32_fp8_fp8 v[100:103], a[126:127], a[38:39], v[100:103]// 000000004704: D3F30064 1D924D7E
	s_waitcnt vmcnt(14)                                        // 00000000470C: BF8C0F7E
	s_barrier                                                  // 000000004710: BF8A0000
	v_mfma_f32_16x16x32_fp8_fp8 v[104:107], a[80:81], a[0:1], v[104:107]// 000000004714: D3F30068 1DA20150
	v_mfma_f32_16x16x32_fp8_fp8 v[104:107], a[82:83], a[2:3], v[104:107]// 00000000471C: D3F30068 1DA20552
	buffer_load_dwordx4 a[112:115], v60, s[84:87], 0 offen     // 000000004724: E05C1000 8095703C
	v_mfma_f32_16x16x32_fp8_fp8 v[104:107], a[84:85], a[4:5], v[104:107]// 00000000472C: D3F30068 1DA20954
	v_mfma_f32_16x16x32_fp8_fp8 v[104:107], a[86:87], a[6:7], v[104:107]// 000000004734: D3F30068 1DA20D56
	ds_read_b128 a[40:43], v2 offset:20736                     // 00000000473C: DBFE5100 28000002
	ds_read_b128 a[44:47], v2 offset:20800                     // 000000004744: DBFE5140 2C000002
	v_mfma_f32_16x16x32_fp8_fp8 v[124:127], a[88:89], a[0:1], v[124:127]// 00000000474C: D3F3007C 1DF20158
	v_mfma_f32_16x16x32_fp8_fp8 v[124:127], a[90:91], a[2:3], v[124:127]// 000000004754: D3F3007C 1DF2055A
	buffer_load_dwordx4 a[116:119], v60, s[84:87], 0 offen offset:1024// 00000000475C: E05C1400 8095743C
	v_mfma_f32_16x16x32_fp8_fp8 v[124:127], a[92:93], a[4:5], v[124:127]// 000000004764: D3F3007C 1DF2095C
	v_mfma_f32_16x16x32_fp8_fp8 v[124:127], a[94:95], a[6:7], v[124:127]// 00000000476C: D3F3007C 1DF20D5E
	ds_read_b128 a[48:51], v2 offset:21248                     // 000000004774: DBFE5300 30000002
	ds_read_b128 a[52:55], v2 offset:21312                     // 00000000477C: DBFE5340 34000002
	v_mfma_f32_16x16x32_fp8_fp8 v[108:111], a[80:81], a[8:9], v[108:111]// 000000004784: D3F3006C 1DB21150
	v_mfma_f32_16x16x32_fp8_fp8 v[108:111], a[82:83], a[10:11], v[108:111]// 00000000478C: D3F3006C 1DB21552
	buffer_load_dwordx4 a[120:123], v61, s[84:87], 0 offen     // 000000004794: E05C1000 8095783D
	v_mfma_f32_16x16x32_fp8_fp8 v[108:111], a[84:85], a[12:13], v[108:111]// 00000000479C: D3F3006C 1DB21954
	v_mfma_f32_16x16x32_fp8_fp8 v[108:111], a[86:87], a[14:15], v[108:111]// 0000000047A4: D3F3006C 1DB21D56
	ds_read_b128 a[56:59], v2 offset:21760                     // 0000000047AC: DBFE5500 38000002
	ds_read_b128 a[60:63], v2 offset:21824                     // 0000000047B4: DBFE5540 3C000002
	v_mfma_f32_16x16x32_fp8_fp8 v[128:131], a[88:89], a[8:9], v[128:131]// 0000000047BC: D3F30080 1E021158
	v_mfma_f32_16x16x32_fp8_fp8 v[128:131], a[90:91], a[10:11], v[128:131]// 0000000047C4: D3F30080 1E02155A
	buffer_load_dwordx4 a[124:127], v61, s[84:87], 0 offen offset:1024// 0000000047CC: E05C1400 80957C3D
	v_mfma_f32_16x16x32_fp8_fp8 v[128:131], a[92:93], a[12:13], v[128:131]// 0000000047D4: D3F30080 1E02195C
	v_mfma_f32_16x16x32_fp8_fp8 v[128:131], a[94:95], a[14:15], v[128:131]// 0000000047DC: D3F30080 1E021D5E
	ds_read_b128 a[64:67], v2 offset:22272                     // 0000000047E4: DBFE5700 40000002
	ds_read_b128 a[68:71], v2 offset:22336                     // 0000000047EC: DBFE5740 44000002
	v_mfma_f32_16x16x32_fp8_fp8 v[112:115], a[80:81], a[16:17], v[112:115]// 0000000047F4: D3F30070 1DC22150
	v_mfma_f32_16x16x32_fp8_fp8 v[112:115], a[82:83], a[18:19], v[112:115]// 0000000047FC: D3F30070 1DC22552
	v_mfma_f32_16x16x32_fp8_fp8 v[112:115], a[84:85], a[20:21], v[112:115]// 000000004804: D3F30070 1DC22954
	v_mfma_f32_16x16x32_fp8_fp8 v[112:115], a[86:87], a[22:23], v[112:115]// 00000000480C: D3F30070 1DC22D56
	ds_read_b128 a[72:75], v2 offset:22784                     // 000000004814: DBFE5900 48000002
	ds_read_b128 a[76:79], v2 offset:22848                     // 00000000481C: DBFE5940 4C000002
	v_mfma_f32_16x16x32_fp8_fp8 v[132:135], a[88:89], a[16:17], v[132:135]// 000000004824: D3F30084 1E122158
	v_mfma_f32_16x16x32_fp8_fp8 v[132:135], a[90:91], a[18:19], v[132:135]// 00000000482C: D3F30084 1E12255A
	v_mfma_f32_16x16x32_fp8_fp8 v[132:135], a[92:93], a[20:21], v[132:135]// 000000004834: D3F30084 1E12295C
	v_mfma_f32_16x16x32_fp8_fp8 v[132:135], a[94:95], a[22:23], v[132:135]// 00000000483C: D3F30084 1E122D5E
	v_mfma_f32_16x16x32_fp8_fp8 v[116:119], a[80:81], a[24:25], v[116:119]// 000000004844: D3F30074 1DD23150
	v_mfma_f32_16x16x32_fp8_fp8 v[116:119], a[82:83], a[26:27], v[116:119]// 00000000484C: D3F30074 1DD23552
	v_mfma_f32_16x16x32_fp8_fp8 v[116:119], a[84:85], a[28:29], v[116:119]// 000000004854: D3F30074 1DD23954
	v_mfma_f32_16x16x32_fp8_fp8 v[116:119], a[86:87], a[30:31], v[116:119]// 00000000485C: D3F30074 1DD23D56
	v_mfma_f32_16x16x32_fp8_fp8 v[136:139], a[88:89], a[24:25], v[136:139]// 000000004864: D3F30088 1E223158
	v_mfma_f32_16x16x32_fp8_fp8 v[136:139], a[90:91], a[26:27], v[136:139]// 00000000486C: D3F30088 1E22355A
	v_mfma_f32_16x16x32_fp8_fp8 v[136:139], a[92:93], a[28:29], v[136:139]// 000000004874: D3F30088 1E22395C
	v_mfma_f32_16x16x32_fp8_fp8 v[136:139], a[94:95], a[30:31], v[136:139]// 00000000487C: D3F30088 1E223D5E
	v_mfma_f32_16x16x32_fp8_fp8 v[120:123], a[80:81], a[32:33], v[120:123]// 000000004884: D3F30078 1DE24150
	s_add_u32 s60, 0x180, s80                                  // 00000000488C: 803C50FF 00000180
	s_cmp_lt_u32 s60, s81                                      // 000000004894: BF0A513C
	s_cselect_b32 s57, s57, 0                                  // 000000004898: 85398039
	v_mfma_f32_16x16x32_fp8_fp8 v[120:123], a[82:83], a[34:35], v[120:123]// 00000000489C: D3F30078 1DE24552
	s_add_u32 s60, 0x100, s80                                  // 0000000048A4: 803C50FF 00000100
	s_cmp_lt_u32 s60, s81                                      // 0000000048AC: BF0A513C
	s_cselect_b32 s58, s58, 0                                  // 0000000048B0: 853A803A
	v_mfma_f32_16x16x32_fp8_fp8 v[120:123], a[84:85], a[36:37], v[120:123]// 0000000048B4: D3F30078 1DE24954
	s_add_u32 s60, 0x100, s80                                  // 0000000048BC: 803C50FF 00000100
	s_cmp_lt_u32 s60, s81                                      // 0000000048C4: BF0A513C
	s_cselect_b32 s83, s83, 0                                  // 0000000048C8: 85538053
	v_mfma_f32_16x16x32_fp8_fp8 v[120:123], a[86:87], a[38:39], v[120:123]// 0000000048CC: D3F30078 1DE24D56
	s_add_u32 s24, s58, s24                                    // 0000000048D4: 8018183A
	s_addc_u32 s25, 0, s25                                     // 0000000048D8: 82191980
	v_mfma_f32_16x16x32_fp8_fp8 v[140:143], a[88:89], a[32:33], v[140:143]// 0000000048DC: D3F3008C 1E324158
	s_add_u32 s20, s57, s20                                    // 0000000048E4: 80141439
	s_addc_u32 s21, 0, s21                                     // 0000000048E8: 82151580
	v_mfma_f32_16x16x32_fp8_fp8 v[140:143], a[90:91], a[34:35], v[140:143]// 0000000048EC: D3F3008C 1E32455A
	s_add_u32 s84, s83, s84                                    // 0000000048F4: 80545453
	s_addc_u32 s85, 0, s85                                     // 0000000048F8: 82555580
	v_mfma_f32_16x16x32_fp8_fp8 v[140:143], a[92:93], a[36:37], v[140:143]// 0000000048FC: D3F3008C 1E32495C
	v_mfma_f32_16x16x32_fp8_fp8 v[140:143], a[94:95], a[38:39], v[140:143]// 000000004904: D3F3008C 1E324D5E
	s_addk_i32 s80, 0x80                                       // 00000000490C: B7500080
	s_cmp_lt_i32 s80, s81                                      // 000000004910: BF045150
	s_cbranch_scc0 label_08CA                                  // 000000004914: BF840104
	s_waitcnt vmcnt(14) lgkmcnt(0)                             // 000000004918: BF8C007E
	v_mfma_f32_16x16x32_fp8_fp8 v[64:67], a[96:97], a[40:41], v[64:67]// 00000000491C: D3F30040 1D025160
	v_mfma_f32_16x16x32_fp8_fp8 v[64:67], a[98:99], a[42:43], v[64:67]// 000000004924: D3F30040 1D025562
	buffer_load_dwordx4 a[80:83], v60, s[24:27], 0 offen       // 00000000492C: E05C1000 8086503C
	v_mfma_f32_16x16x32_fp8_fp8 v[64:67], a[100:101], a[44:45], v[64:67]// 000000004934: D3F30040 1D025964
	v_mfma_f32_16x16x32_fp8_fp8 v[64:67], a[102:103], a[46:47], v[64:67]// 00000000493C: D3F30040 1D025D66
	v_mfma_f32_16x16x32_fp8_fp8 v[84:87], a[104:105], a[40:41], v[84:87]// 000000004944: D3F30054 1D525168
	v_mfma_f32_16x16x32_fp8_fp8 v[84:87], a[106:107], a[42:43], v[84:87]// 00000000494C: D3F30054 1D52556A
	buffer_load_dwordx4 a[84:87], v60, s[24:27], 0 offen offset:1024// 000000004954: E05C1400 8086543C
	v_mfma_f32_16x16x32_fp8_fp8 v[84:87], a[108:109], a[44:45], v[84:87]// 00000000495C: D3F30054 1D52596C
	v_mfma_f32_16x16x32_fp8_fp8 v[84:87], a[110:111], a[46:47], v[84:87]// 000000004964: D3F30054 1D525D6E
	v_mfma_f32_16x16x32_fp8_fp8 v[68:71], a[96:97], a[48:49], v[68:71]// 00000000496C: D3F30044 1D126160
	v_mfma_f32_16x16x32_fp8_fp8 v[68:71], a[98:99], a[50:51], v[68:71]// 000000004974: D3F30044 1D126562
	buffer_load_dwordx4 a[88:91], v61, s[24:27], 0 offen       // 00000000497C: E05C1000 8086583D
	v_mfma_f32_16x16x32_fp8_fp8 v[68:71], a[100:101], a[52:53], v[68:71]// 000000004984: D3F30044 1D126964
	v_mfma_f32_16x16x32_fp8_fp8 v[68:71], a[102:103], a[54:55], v[68:71]// 00000000498C: D3F30044 1D126D66
	v_mfma_f32_16x16x32_fp8_fp8 v[88:91], a[104:105], a[48:49], v[88:91]// 000000004994: D3F30058 1D626168
	v_mfma_f32_16x16x32_fp8_fp8 v[88:91], a[106:107], a[50:51], v[88:91]// 00000000499C: D3F30058 1D62656A
	buffer_load_dwordx4 a[92:95], v61, s[24:27], 0 offen offset:1024// 0000000049A4: E05C1400 80865C3D
	buffer_load_dword v50, s[20:23], 0 offen lds               // 0000000049AC: E0511000 80050032
	s_add_u32 m0, 0x100, s49                                   // 0000000049B4: 807C31FF 00000100
	v_mfma_f32_16x16x32_fp8_fp8 v[88:91], a[108:109], a[52:53], v[88:91]// 0000000049BC: D3F30058 1D62696C
	v_mfma_f32_16x16x32_fp8_fp8 v[88:91], a[110:111], a[54:55], v[88:91]// 0000000049C4: D3F30058 1D626D6E
	buffer_load_dword v51, s[20:23], 0 offen lds               // 0000000049CC: E0511000 80050033
	s_add_u32 m0, 0x200, s49                                   // 0000000049D4: 807C31FF 00000200
	v_mfma_f32_16x16x32_fp8_fp8 v[72:75], a[96:97], a[56:57], v[72:75]// 0000000049DC: D3F30048 1D227160
	v_mfma_f32_16x16x32_fp8_fp8 v[72:75], a[98:99], a[58:59], v[72:75]// 0000000049E4: D3F30048 1D227562
	buffer_load_dword v52, s[20:23], 0 offen lds               // 0000000049EC: E0511000 80050034
	s_add_u32 m0, 0x300, s49                                   // 0000000049F4: 807C31FF 00000300
	v_mfma_f32_16x16x32_fp8_fp8 v[72:75], a[100:101], a[60:61], v[72:75]// 0000000049FC: D3F30048 1D227964
	v_mfma_f32_16x16x32_fp8_fp8 v[72:75], a[102:103], a[62:63], v[72:75]// 000000004A04: D3F30048 1D227D66
	buffer_load_dword v53, s[20:23], 0 offen lds               // 000000004A0C: E0511000 80050035
	s_add_u32 m0, 0x400, s49                                   // 000000004A14: 807C31FF 00000400
	v_mfma_f32_16x16x32_fp8_fp8 v[92:95], a[104:105], a[56:57], v[92:95]// 000000004A1C: D3F3005C 1D727168
	v_mfma_f32_16x16x32_fp8_fp8 v[92:95], a[106:107], a[58:59], v[92:95]// 000000004A24: D3F3005C 1D72756A
	buffer_load_dword v54, s[20:23], 0 offen lds               // 000000004A2C: E0511000 80050036
	s_add_u32 m0, 0x500, s49                                   // 000000004A34: 807C31FF 00000500
	v_mfma_f32_16x16x32_fp8_fp8 v[92:95], a[108:109], a[60:61], v[92:95]// 000000004A3C: D3F3005C 1D72796C
	v_mfma_f32_16x16x32_fp8_fp8 v[92:95], a[110:111], a[62:63], v[92:95]// 000000004A44: D3F3005C 1D727D6E
	buffer_load_dword v55, s[20:23], 0 offen lds               // 000000004A4C: E0511000 80050037
	s_add_u32 m0, 0x600, s49                                   // 000000004A54: 807C31FF 00000600
	v_mfma_f32_16x16x32_fp8_fp8 v[76:79], a[96:97], a[64:65], v[76:79]// 000000004A5C: D3F3004C 1D328160
	v_mfma_f32_16x16x32_fp8_fp8 v[76:79], a[98:99], a[66:67], v[76:79]// 000000004A64: D3F3004C 1D328562
	buffer_load_dword v56, s[20:23], 0 offen lds               // 000000004A6C: E0511000 80050038
	s_add_u32 m0, 0x700, s49                                   // 000000004A74: 807C31FF 00000700
	v_mfma_f32_16x16x32_fp8_fp8 v[76:79], a[100:101], a[68:69], v[76:79]// 000000004A7C: D3F3004C 1D328964
	v_mfma_f32_16x16x32_fp8_fp8 v[76:79], a[102:103], a[70:71], v[76:79]// 000000004A84: D3F3004C 1D328D66
	buffer_load_dword v57, s[20:23], 0 offen lds               // 000000004A8C: E0511000 80050039
	s_add_u32 m0, 0x800, s49                                   // 000000004A94: 807C31FF 00000800
	v_mfma_f32_16x16x32_fp8_fp8 v[96:99], a[104:105], a[64:65], v[96:99]// 000000004A9C: D3F30060 1D828168
	v_mfma_f32_16x16x32_fp8_fp8 v[96:99], a[106:107], a[66:67], v[96:99]// 000000004AA4: D3F30060 1D82856A
	buffer_load_dword v58, s[20:23], 0 offen lds               // 000000004AAC: E0511000 8005003A
	s_add_u32 m0, 0x900, s49                                   // 000000004AB4: 807C31FF 00000900
	v_mfma_f32_16x16x32_fp8_fp8 v[96:99], a[108:109], a[68:69], v[96:99]// 000000004ABC: D3F30060 1D82896C
	v_mfma_f32_16x16x32_fp8_fp8 v[96:99], a[110:111], a[70:71], v[96:99]// 000000004AC4: D3F30060 1D828D6E
	buffer_load_dword v59, s[20:23], 0 offen lds               // 000000004ACC: E0511000 8005003B
	s_add_u32 m0, 0, s50                                       // 000000004AD4: 807C3280
	v_mfma_f32_16x16x32_fp8_fp8 v[80:83], a[96:97], a[72:73], v[80:83]// 000000004AD8: D3F30050 1D429160
	v_mfma_f32_16x16x32_fp8_fp8 v[80:83], a[98:99], a[74:75], v[80:83]// 000000004AE0: D3F30050 1D429562
	v_mfma_f32_16x16x32_fp8_fp8 v[80:83], a[100:101], a[76:77], v[80:83]// 000000004AE8: D3F30050 1D429964
	v_mfma_f32_16x16x32_fp8_fp8 v[80:83], a[102:103], a[78:79], v[80:83]// 000000004AF0: D3F30050 1D429D66
	v_mfma_f32_16x16x32_fp8_fp8 v[100:103], a[104:105], a[72:73], v[100:103]// 000000004AF8: D3F30064 1D929168
	v_mfma_f32_16x16x32_fp8_fp8 v[100:103], a[106:107], a[74:75], v[100:103]// 000000004B00: D3F30064 1D92956A
	v_mfma_f32_16x16x32_fp8_fp8 v[100:103], a[108:109], a[76:77], v[100:103]// 000000004B08: D3F30064 1D92996C
	v_mfma_f32_16x16x32_fp8_fp8 v[100:103], a[110:111], a[78:79], v[100:103]// 000000004B10: D3F30064 1D929D6E
	s_waitcnt vmcnt(14)                                        // 000000004B18: BF8C0F7E
	s_barrier                                                  // 000000004B1C: BF8A0000
	v_mfma_f32_16x16x32_fp8_fp8 v[104:107], a[112:113], a[40:41], v[104:107]// 000000004B20: D3F30068 1DA25170
	v_mfma_f32_16x16x32_fp8_fp8 v[104:107], a[114:115], a[42:43], v[104:107]// 000000004B28: D3F30068 1DA25572
	buffer_load_dwordx4 a[96:99], v60, s[84:87], 0 offen       // 000000004B30: E05C1000 8095603C
	v_mfma_f32_16x16x32_fp8_fp8 v[104:107], a[116:117], a[44:45], v[104:107]// 000000004B38: D3F30068 1DA25974
	v_mfma_f32_16x16x32_fp8_fp8 v[104:107], a[118:119], a[46:47], v[104:107]// 000000004B40: D3F30068 1DA25D76
	ds_read_b128 a[0:3], v2                                    // 000000004B48: DBFE0000 00000002
	ds_read_b128 a[4:7], v2 offset:64                          // 000000004B50: DBFE0040 04000002
	v_mfma_f32_16x16x32_fp8_fp8 v[124:127], a[120:121], a[40:41], v[124:127]// 000000004B58: D3F3007C 1DF25178
	v_mfma_f32_16x16x32_fp8_fp8 v[124:127], a[122:123], a[42:43], v[124:127]// 000000004B60: D3F3007C 1DF2557A
	buffer_load_dwordx4 a[100:103], v60, s[84:87], 0 offen offset:1024// 000000004B68: E05C1400 8095643C
	v_mfma_f32_16x16x32_fp8_fp8 v[124:127], a[124:125], a[44:45], v[124:127]// 000000004B70: D3F3007C 1DF2597C
	v_mfma_f32_16x16x32_fp8_fp8 v[124:127], a[126:127], a[46:47], v[124:127]// 000000004B78: D3F3007C 1DF25D7E
	ds_read_b128 a[8:11], v2 offset:512                        // 000000004B80: DBFE0200 08000002
	ds_read_b128 a[12:15], v2 offset:576                       // 000000004B88: DBFE0240 0C000002
	v_mfma_f32_16x16x32_fp8_fp8 v[108:111], a[112:113], a[48:49], v[108:111]// 000000004B90: D3F3006C 1DB26170
	v_mfma_f32_16x16x32_fp8_fp8 v[108:111], a[114:115], a[50:51], v[108:111]// 000000004B98: D3F3006C 1DB26572
	buffer_load_dwordx4 a[104:107], v61, s[84:87], 0 offen     // 000000004BA0: E05C1000 8095683D
	v_mfma_f32_16x16x32_fp8_fp8 v[108:111], a[116:117], a[52:53], v[108:111]// 000000004BA8: D3F3006C 1DB26974
	v_mfma_f32_16x16x32_fp8_fp8 v[108:111], a[118:119], a[54:55], v[108:111]// 000000004BB0: D3F3006C 1DB26D76
	ds_read_b128 a[16:19], v2 offset:1024                      // 000000004BB8: DBFE0400 10000002
	ds_read_b128 a[20:23], v2 offset:1088                      // 000000004BC0: DBFE0440 14000002
	v_mfma_f32_16x16x32_fp8_fp8 v[128:131], a[120:121], a[48:49], v[128:131]// 000000004BC8: D3F30080 1E026178
	v_mfma_f32_16x16x32_fp8_fp8 v[128:131], a[122:123], a[50:51], v[128:131]// 000000004BD0: D3F30080 1E02657A
	buffer_load_dwordx4 a[108:111], v61, s[84:87], 0 offen offset:1024// 000000004BD8: E05C1400 80956C3D
	v_mfma_f32_16x16x32_fp8_fp8 v[128:131], a[124:125], a[52:53], v[128:131]// 000000004BE0: D3F30080 1E02697C
	v_mfma_f32_16x16x32_fp8_fp8 v[128:131], a[126:127], a[54:55], v[128:131]// 000000004BE8: D3F30080 1E026D7E
	ds_read_b128 a[24:27], v2 offset:1536                      // 000000004BF0: DBFE0600 18000002
	ds_read_b128 a[28:31], v2 offset:1600                      // 000000004BF8: DBFE0640 1C000002
	v_mfma_f32_16x16x32_fp8_fp8 v[112:115], a[112:113], a[56:57], v[112:115]// 000000004C00: D3F30070 1DC27170
	v_mfma_f32_16x16x32_fp8_fp8 v[112:115], a[114:115], a[58:59], v[112:115]// 000000004C08: D3F30070 1DC27572
	v_mfma_f32_16x16x32_fp8_fp8 v[112:115], a[116:117], a[60:61], v[112:115]// 000000004C10: D3F30070 1DC27974
	v_mfma_f32_16x16x32_fp8_fp8 v[112:115], a[118:119], a[62:63], v[112:115]// 000000004C18: D3F30070 1DC27D76
	ds_read_b128 a[32:35], v2 offset:2048                      // 000000004C20: DBFE0800 20000002
	ds_read_b128 a[36:39], v2 offset:2112                      // 000000004C28: DBFE0840 24000002
	v_mfma_f32_16x16x32_fp8_fp8 v[132:135], a[120:121], a[56:57], v[132:135]// 000000004C30: D3F30084 1E127178
	v_mfma_f32_16x16x32_fp8_fp8 v[132:135], a[122:123], a[58:59], v[132:135]// 000000004C38: D3F30084 1E12757A
	v_mfma_f32_16x16x32_fp8_fp8 v[132:135], a[124:125], a[60:61], v[132:135]// 000000004C40: D3F30084 1E12797C
	v_mfma_f32_16x16x32_fp8_fp8 v[132:135], a[126:127], a[62:63], v[132:135]// 000000004C48: D3F30084 1E127D7E
	v_mfma_f32_16x16x32_fp8_fp8 v[116:119], a[112:113], a[64:65], v[116:119]// 000000004C50: D3F30074 1DD28170
	v_mfma_f32_16x16x32_fp8_fp8 v[116:119], a[114:115], a[66:67], v[116:119]// 000000004C58: D3F30074 1DD28572
	v_mfma_f32_16x16x32_fp8_fp8 v[116:119], a[116:117], a[68:69], v[116:119]// 000000004C60: D3F30074 1DD28974
	v_mfma_f32_16x16x32_fp8_fp8 v[116:119], a[118:119], a[70:71], v[116:119]// 000000004C68: D3F30074 1DD28D76
	v_mfma_f32_16x16x32_fp8_fp8 v[136:139], a[120:121], a[64:65], v[136:139]// 000000004C70: D3F30088 1E228178
	v_mfma_f32_16x16x32_fp8_fp8 v[136:139], a[122:123], a[66:67], v[136:139]// 000000004C78: D3F30088 1E22857A
	v_mfma_f32_16x16x32_fp8_fp8 v[136:139], a[124:125], a[68:69], v[136:139]// 000000004C80: D3F30088 1E22897C
	v_mfma_f32_16x16x32_fp8_fp8 v[136:139], a[126:127], a[70:71], v[136:139]// 000000004C88: D3F30088 1E228D7E
	v_mfma_f32_16x16x32_fp8_fp8 v[120:123], a[112:113], a[72:73], v[120:123]// 000000004C90: D3F30078 1DE29170
	s_add_u32 s60, 0x180, s80                                  // 000000004C98: 803C50FF 00000180
	s_cmp_lt_u32 s60, s81                                      // 000000004CA0: BF0A513C
	s_cselect_b32 s57, s57, 0                                  // 000000004CA4: 85398039
	v_mfma_f32_16x16x32_fp8_fp8 v[120:123], a[114:115], a[74:75], v[120:123]// 000000004CA8: D3F30078 1DE29572
	s_add_u32 s60, 0x100, s80                                  // 000000004CB0: 803C50FF 00000100
	s_cmp_lt_u32 s60, s81                                      // 000000004CB8: BF0A513C
	s_cselect_b32 s58, s58, 0                                  // 000000004CBC: 853A803A
	v_mfma_f32_16x16x32_fp8_fp8 v[120:123], a[116:117], a[76:77], v[120:123]// 000000004CC0: D3F30078 1DE29974
	s_add_u32 s60, 0x100, s80                                  // 000000004CC8: 803C50FF 00000100
	s_cmp_lt_u32 s60, s81                                      // 000000004CD0: BF0A513C
	s_cselect_b32 s83, s83, 0                                  // 000000004CD4: 85538053
	v_mfma_f32_16x16x32_fp8_fp8 v[120:123], a[118:119], a[78:79], v[120:123]// 000000004CD8: D3F30078 1DE29D76
	s_add_u32 s24, s58, s24                                    // 000000004CE0: 8018183A
	s_addc_u32 s25, 0, s25                                     // 000000004CE4: 82191980
	v_mfma_f32_16x16x32_fp8_fp8 v[140:143], a[120:121], a[72:73], v[140:143]// 000000004CE8: D3F3008C 1E329178
	s_add_u32 s20, s57, s20                                    // 000000004CF0: 80141439
	s_addc_u32 s21, 0, s21                                     // 000000004CF4: 82151580
	v_mfma_f32_16x16x32_fp8_fp8 v[140:143], a[122:123], a[74:75], v[140:143]// 000000004CF8: D3F3008C 1E32957A
	s_add_u32 s84, s83, s84                                    // 000000004D00: 80545453
	s_addc_u32 s85, 0, s85                                     // 000000004D04: 82555580
	v_mfma_f32_16x16x32_fp8_fp8 v[140:143], a[124:125], a[76:77], v[140:143]// 000000004D08: D3F3008C 1E32997C
	v_mfma_f32_16x16x32_fp8_fp8 v[140:143], a[126:127], a[78:79], v[140:143]// 000000004D10: D3F3008C 1E329D7E
	s_addk_i32 s80, 0x80                                       // 000000004D18: B7500080
	s_cmp_lt_i32 s80, s81                                      // 000000004D1C: BF045150
	s_cbranch_scc0 label_08CA                                  // 000000004D20: BF840001
	s_branch label_02B7                                        // 000000004D24: BF82F9ED

0000000000004d28 <label_08CA>:
	v_mul_f32_dpp v64, v24, v64 row_newbcast:0 row_mask:0xf bank_mask:0xf// 000000004D28: 0A8080FA FF015018
	v_mul_f32_dpp v65, v24, v65 row_newbcast:1 row_mask:0xf bank_mask:0xf// 000000004D30: 0A8282FA FF015118
	v_mul_f32_dpp v66, v24, v66 row_newbcast:2 row_mask:0xf bank_mask:0xf// 000000004D38: 0A8484FA FF015218
	v_mul_f32_dpp v67, v24, v67 row_newbcast:3 row_mask:0xf bank_mask:0xf// 000000004D40: 0A8686FA FF015318
	v_mul_f32_dpp v68, v24, v68 row_newbcast:0 row_mask:0xf bank_mask:0xf// 000000004D48: 0A8888FA FF015018
	v_mul_f32_dpp v69, v24, v69 row_newbcast:1 row_mask:0xf bank_mask:0xf// 000000004D50: 0A8A8AFA FF015118
	v_mul_f32_dpp v70, v24, v70 row_newbcast:2 row_mask:0xf bank_mask:0xf// 000000004D58: 0A8C8CFA FF015218
	v_mul_f32_dpp v71, v24, v71 row_newbcast:3 row_mask:0xf bank_mask:0xf// 000000004D60: 0A8E8EFA FF015318
	v_mul_f32_dpp v72, v24, v72 row_newbcast:0 row_mask:0xf bank_mask:0xf// 000000004D68: 0A9090FA FF015018
	v_mul_f32_dpp v73, v24, v73 row_newbcast:1 row_mask:0xf bank_mask:0xf// 000000004D70: 0A9292FA FF015118
	v_mul_f32_dpp v74, v24, v74 row_newbcast:2 row_mask:0xf bank_mask:0xf// 000000004D78: 0A9494FA FF015218
	v_mul_f32_dpp v75, v24, v75 row_newbcast:3 row_mask:0xf bank_mask:0xf// 000000004D80: 0A9696FA FF015318
	v_mul_f32_dpp v76, v24, v76 row_newbcast:0 row_mask:0xf bank_mask:0xf// 000000004D88: 0A9898FA FF015018
	v_mul_f32_dpp v77, v24, v77 row_newbcast:1 row_mask:0xf bank_mask:0xf// 000000004D90: 0A9A9AFA FF015118
	v_mul_f32_dpp v78, v24, v78 row_newbcast:2 row_mask:0xf bank_mask:0xf// 000000004D98: 0A9C9CFA FF015218
	v_mul_f32_dpp v79, v24, v79 row_newbcast:3 row_mask:0xf bank_mask:0xf// 000000004DA0: 0A9E9EFA FF015318
	v_mul_f32_dpp v80, v24, v80 row_newbcast:0 row_mask:0xf bank_mask:0xf// 000000004DA8: 0AA0A0FA FF015018
	v_mul_f32_dpp v81, v24, v81 row_newbcast:1 row_mask:0xf bank_mask:0xf// 000000004DB0: 0AA2A2FA FF015118
	v_mul_f32_dpp v82, v24, v82 row_newbcast:2 row_mask:0xf bank_mask:0xf// 000000004DB8: 0AA4A4FA FF015218
	v_mul_f32_dpp v83, v24, v83 row_newbcast:3 row_mask:0xf bank_mask:0xf// 000000004DC0: 0AA6A6FA FF015318
	v_mul_f32_dpp v84, v24, v84 row_newbcast:4 row_mask:0xf bank_mask:0xf// 000000004DC8: 0AA8A8FA FF015418
	v_mul_f32_dpp v85, v24, v85 row_newbcast:5 row_mask:0xf bank_mask:0xf// 000000004DD0: 0AAAAAFA FF015518
	v_mul_f32_dpp v86, v24, v86 row_newbcast:6 row_mask:0xf bank_mask:0xf// 000000004DD8: 0AACACFA FF015618
	v_mul_f32_dpp v87, v24, v87 row_newbcast:7 row_mask:0xf bank_mask:0xf// 000000004DE0: 0AAEAEFA FF015718
	v_mul_f32_dpp v88, v24, v88 row_newbcast:4 row_mask:0xf bank_mask:0xf// 000000004DE8: 0AB0B0FA FF015418
	v_mul_f32_dpp v89, v24, v89 row_newbcast:5 row_mask:0xf bank_mask:0xf// 000000004DF0: 0AB2B2FA FF015518
	v_mul_f32_dpp v90, v24, v90 row_newbcast:6 row_mask:0xf bank_mask:0xf// 000000004DF8: 0AB4B4FA FF015618
	v_mul_f32_dpp v91, v24, v91 row_newbcast:7 row_mask:0xf bank_mask:0xf// 000000004E00: 0AB6B6FA FF015718
	v_mul_f32_dpp v92, v24, v92 row_newbcast:4 row_mask:0xf bank_mask:0xf// 000000004E08: 0AB8B8FA FF015418
	v_mul_f32_dpp v93, v24, v93 row_newbcast:5 row_mask:0xf bank_mask:0xf// 000000004E10: 0ABABAFA FF015518
	v_mul_f32_dpp v94, v24, v94 row_newbcast:6 row_mask:0xf bank_mask:0xf// 000000004E18: 0ABCBCFA FF015618
	v_mul_f32_dpp v95, v24, v95 row_newbcast:7 row_mask:0xf bank_mask:0xf// 000000004E20: 0ABEBEFA FF015718
	v_mul_f32_dpp v96, v24, v96 row_newbcast:4 row_mask:0xf bank_mask:0xf// 000000004E28: 0AC0C0FA FF015418
	v_mul_f32_dpp v97, v24, v97 row_newbcast:5 row_mask:0xf bank_mask:0xf// 000000004E30: 0AC2C2FA FF015518
	v_mul_f32_dpp v98, v24, v98 row_newbcast:6 row_mask:0xf bank_mask:0xf// 000000004E38: 0AC4C4FA FF015618
	v_mul_f32_dpp v99, v24, v99 row_newbcast:7 row_mask:0xf bank_mask:0xf// 000000004E40: 0AC6C6FA FF015718
	v_mul_f32_dpp v100, v24, v100 row_newbcast:4 row_mask:0xf bank_mask:0xf// 000000004E48: 0AC8C8FA FF015418
	v_mul_f32_dpp v101, v24, v101 row_newbcast:5 row_mask:0xf bank_mask:0xf// 000000004E50: 0ACACAFA FF015518
	v_mul_f32_dpp v102, v24, v102 row_newbcast:6 row_mask:0xf bank_mask:0xf// 000000004E58: 0ACCCCFA FF015618
	v_mul_f32_dpp v103, v24, v103 row_newbcast:7 row_mask:0xf bank_mask:0xf// 000000004E60: 0ACECEFA FF015718
	v_mul_f32_dpp v104, v27, v104 row_newbcast:0 row_mask:0xf bank_mask:0xf// 000000004E68: 0AD0D0FA FF01501B
	v_mul_f32_dpp v105, v27, v105 row_newbcast:1 row_mask:0xf bank_mask:0xf// 000000004E70: 0AD2D2FA FF01511B
	v_mul_f32_dpp v106, v27, v106 row_newbcast:2 row_mask:0xf bank_mask:0xf// 000000004E78: 0AD4D4FA FF01521B
	v_mul_f32_dpp v107, v27, v107 row_newbcast:3 row_mask:0xf bank_mask:0xf// 000000004E80: 0AD6D6FA FF01531B
	v_mul_f32_dpp v108, v27, v108 row_newbcast:0 row_mask:0xf bank_mask:0xf// 000000004E88: 0AD8D8FA FF01501B
	v_mul_f32_dpp v109, v27, v109 row_newbcast:1 row_mask:0xf bank_mask:0xf// 000000004E90: 0ADADAFA FF01511B
	v_mul_f32_dpp v110, v27, v110 row_newbcast:2 row_mask:0xf bank_mask:0xf// 000000004E98: 0ADCDCFA FF01521B
	v_mul_f32_dpp v111, v27, v111 row_newbcast:3 row_mask:0xf bank_mask:0xf// 000000004EA0: 0ADEDEFA FF01531B
	v_mul_f32_dpp v112, v27, v112 row_newbcast:0 row_mask:0xf bank_mask:0xf// 000000004EA8: 0AE0E0FA FF01501B
	v_mul_f32_dpp v113, v27, v113 row_newbcast:1 row_mask:0xf bank_mask:0xf// 000000004EB0: 0AE2E2FA FF01511B
	v_mul_f32_dpp v114, v27, v114 row_newbcast:2 row_mask:0xf bank_mask:0xf// 000000004EB8: 0AE4E4FA FF01521B
	v_mul_f32_dpp v115, v27, v115 row_newbcast:3 row_mask:0xf bank_mask:0xf// 000000004EC0: 0AE6E6FA FF01531B
	v_mul_f32_dpp v116, v27, v116 row_newbcast:0 row_mask:0xf bank_mask:0xf// 000000004EC8: 0AE8E8FA FF01501B
	v_mul_f32_dpp v117, v27, v117 row_newbcast:1 row_mask:0xf bank_mask:0xf// 000000004ED0: 0AEAEAFA FF01511B
	v_mul_f32_dpp v118, v27, v118 row_newbcast:2 row_mask:0xf bank_mask:0xf// 000000004ED8: 0AECECFA FF01521B
	v_mul_f32_dpp v119, v27, v119 row_newbcast:3 row_mask:0xf bank_mask:0xf// 000000004EE0: 0AEEEEFA FF01531B
	v_mul_f32_dpp v120, v27, v120 row_newbcast:0 row_mask:0xf bank_mask:0xf// 000000004EE8: 0AF0F0FA FF01501B
	v_mul_f32_dpp v121, v27, v121 row_newbcast:1 row_mask:0xf bank_mask:0xf// 000000004EF0: 0AF2F2FA FF01511B
	v_mul_f32_dpp v122, v27, v122 row_newbcast:2 row_mask:0xf bank_mask:0xf// 000000004EF8: 0AF4F4FA FF01521B
	v_mul_f32_dpp v123, v27, v123 row_newbcast:3 row_mask:0xf bank_mask:0xf// 000000004F00: 0AF6F6FA FF01531B
	v_mul_f32_dpp v124, v27, v124 row_newbcast:4 row_mask:0xf bank_mask:0xf// 000000004F08: 0AF8F8FA FF01541B
	v_mul_f32_dpp v125, v27, v125 row_newbcast:5 row_mask:0xf bank_mask:0xf// 000000004F10: 0AFAFAFA FF01551B
	v_mul_f32_dpp v126, v27, v126 row_newbcast:6 row_mask:0xf bank_mask:0xf// 000000004F18: 0AFCFCFA FF01561B
	v_mul_f32_dpp v127, v27, v127 row_newbcast:7 row_mask:0xf bank_mask:0xf// 000000004F20: 0AFEFEFA FF01571B
	v_mul_f32_dpp v128, v27, v128 row_newbcast:4 row_mask:0xf bank_mask:0xf// 000000004F28: 0B0100FA FF01541B
	v_mul_f32_dpp v129, v27, v129 row_newbcast:5 row_mask:0xf bank_mask:0xf// 000000004F30: 0B0302FA FF01551B
	v_mul_f32_dpp v130, v27, v130 row_newbcast:6 row_mask:0xf bank_mask:0xf// 000000004F38: 0B0504FA FF01561B
	v_mul_f32_dpp v131, v27, v131 row_newbcast:7 row_mask:0xf bank_mask:0xf// 000000004F40: 0B0706FA FF01571B
	v_mul_f32_dpp v132, v27, v132 row_newbcast:4 row_mask:0xf bank_mask:0xf// 000000004F48: 0B0908FA FF01541B
	v_mul_f32_dpp v133, v27, v133 row_newbcast:5 row_mask:0xf bank_mask:0xf// 000000004F50: 0B0B0AFA FF01551B
	v_mul_f32_dpp v134, v27, v134 row_newbcast:6 row_mask:0xf bank_mask:0xf// 000000004F58: 0B0D0CFA FF01561B
	v_mul_f32_dpp v135, v27, v135 row_newbcast:7 row_mask:0xf bank_mask:0xf// 000000004F60: 0B0F0EFA FF01571B
	v_mul_f32_dpp v136, v27, v136 row_newbcast:4 row_mask:0xf bank_mask:0xf// 000000004F68: 0B1110FA FF01541B
	v_mul_f32_dpp v137, v27, v137 row_newbcast:5 row_mask:0xf bank_mask:0xf// 000000004F70: 0B1312FA FF01551B
	v_mul_f32_dpp v138, v27, v138 row_newbcast:6 row_mask:0xf bank_mask:0xf// 000000004F78: 0B1514FA FF01561B
	v_mul_f32_dpp v139, v27, v139 row_newbcast:7 row_mask:0xf bank_mask:0xf// 000000004F80: 0B1716FA FF01571B
	v_mul_f32_dpp v140, v27, v140 row_newbcast:4 row_mask:0xf bank_mask:0xf// 000000004F88: 0B1918FA FF01541B
	v_mul_f32_dpp v141, v27, v141 row_newbcast:5 row_mask:0xf bank_mask:0xf// 000000004F90: 0B1B1AFA FF01551B
	v_mul_f32_dpp v142, v27, v142 row_newbcast:6 row_mask:0xf bank_mask:0xf// 000000004F98: 0B1D1CFA FF01561B
	v_mul_f32_dpp v143, v27, v143 row_newbcast:7 row_mask:0xf bank_mask:0xf// 000000004FA0: 0B1F1EFA FF01571B
	v_mov_b32_e32 v4, v35                                      // 000000004FA8: 7E080323
	v_mov_b32_e32 v5, v4                                       // 000000004FAC: 7E0A0304
	v_pk_mul_f32 v[64:65], v[4:5], v[64:65]                    // 000000004FB0: D3B14040 18028104
	v_pk_mul_f32 v[104:105], v[4:5], v[104:105]                // 000000004FB8: D3B14068 1802D104
	v_pk_mul_f32 v[66:67], v[4:5], v[66:67]                    // 000000004FC0: D3B14042 18028504
	v_pk_mul_f32 v[106:107], v[4:5], v[106:107]                // 000000004FC8: D3B1406A 1802D504
	v_pk_mul_f32 v[84:85], v[4:5], v[84:85]                    // 000000004FD0: D3B14054 1802A904
	v_pk_mul_f32 v[124:125], v[4:5], v[124:125]                // 000000004FD8: D3B1407C 1802F904
	v_pk_mul_f32 v[86:87], v[4:5], v[86:87]                    // 000000004FE0: D3B14056 1802AD04
	v_pk_mul_f32 v[126:127], v[4:5], v[126:127]                // 000000004FE8: D3B1407E 1802FD04
	v_mov_b32_e32 v4, v36                                      // 000000004FF0: 7E080324
	v_mov_b32_e32 v5, v4                                       // 000000004FF4: 7E0A0304
	v_pk_mul_f32 v[68:69], v[4:5], v[68:69]                    // 000000004FF8: D3B14044 18028904
	v_pk_mul_f32 v[108:109], v[4:5], v[108:109]                // 000000005000: D3B1406C 1802D904
	v_pk_mul_f32 v[70:71], v[4:5], v[70:71]                    // 000000005008: D3B14046 18028D04
	v_pk_mul_f32 v[110:111], v[4:5], v[110:111]                // 000000005010: D3B1406E 1802DD04
	v_pk_mul_f32 v[88:89], v[4:5], v[88:89]                    // 000000005018: D3B14058 1802B104
	v_pk_mul_f32 v[128:129], v[4:5], v[128:129]                // 000000005020: D3B14080 18030104
	v_pk_mul_f32 v[90:91], v[4:5], v[90:91]                    // 000000005028: D3B1405A 1802B504
	v_pk_mul_f32 v[130:131], v[4:5], v[130:131]                // 000000005030: D3B14082 18030504
	v_mov_b32_e32 v4, v37                                      // 000000005038: 7E080325
	v_mov_b32_e32 v5, v4                                       // 00000000503C: 7E0A0304
	v_pk_mul_f32 v[72:73], v[4:5], v[72:73]                    // 000000005040: D3B14048 18029104
	v_pk_mul_f32 v[112:113], v[4:5], v[112:113]                // 000000005048: D3B14070 1802E104
	v_pk_mul_f32 v[74:75], v[4:5], v[74:75]                    // 000000005050: D3B1404A 18029504
	v_pk_mul_f32 v[114:115], v[4:5], v[114:115]                // 000000005058: D3B14072 1802E504
	v_pk_mul_f32 v[92:93], v[4:5], v[92:93]                    // 000000005060: D3B1405C 1802B904
	v_pk_mul_f32 v[132:133], v[4:5], v[132:133]                // 000000005068: D3B14084 18030904
	v_pk_mul_f32 v[94:95], v[4:5], v[94:95]                    // 000000005070: D3B1405E 1802BD04
	v_pk_mul_f32 v[134:135], v[4:5], v[134:135]                // 000000005078: D3B14086 18030D04
	v_mov_b32_e32 v4, v38                                      // 000000005080: 7E080326
	v_mov_b32_e32 v5, v4                                       // 000000005084: 7E0A0304
	v_pk_mul_f32 v[76:77], v[4:5], v[76:77]                    // 000000005088: D3B1404C 18029904
	v_pk_mul_f32 v[116:117], v[4:5], v[116:117]                // 000000005090: D3B14074 1802E904
	v_pk_mul_f32 v[78:79], v[4:5], v[78:79]                    // 000000005098: D3B1404E 18029D04
	v_pk_mul_f32 v[118:119], v[4:5], v[118:119]                // 0000000050A0: D3B14076 1802ED04
	v_pk_mul_f32 v[96:97], v[4:5], v[96:97]                    // 0000000050A8: D3B14060 1802C104
	v_pk_mul_f32 v[136:137], v[4:5], v[136:137]                // 0000000050B0: D3B14088 18031104
	v_pk_mul_f32 v[98:99], v[4:5], v[98:99]                    // 0000000050B8: D3B14062 1802C504
	v_pk_mul_f32 v[138:139], v[4:5], v[138:139]                // 0000000050C0: D3B1408A 18031504
	v_mov_b32_e32 v4, v39                                      // 0000000050C8: 7E080327
	v_mov_b32_e32 v5, v4                                       // 0000000050CC: 7E0A0304
	v_pk_mul_f32 v[80:81], v[4:5], v[80:81]                    // 0000000050D0: D3B14050 1802A104
	v_pk_mul_f32 v[120:121], v[4:5], v[120:121]                // 0000000050D8: D3B14078 1802F104
	v_pk_mul_f32 v[82:83], v[4:5], v[82:83]                    // 0000000050E0: D3B14052 1802A504
	v_pk_mul_f32 v[122:123], v[4:5], v[122:123]                // 0000000050E8: D3B1407A 1802F504
	v_pk_mul_f32 v[100:101], v[4:5], v[100:101]                // 0000000050F0: D3B14064 1802C904
	v_pk_mul_f32 v[140:141], v[4:5], v[140:141]                // 0000000050F8: D3B1408C 18031904
	v_pk_mul_f32 v[102:103], v[4:5], v[102:103]                // 000000005100: D3B14066 1802CD04
	v_pk_mul_f32 v[142:143], v[4:5], v[142:143]                // 000000005108: D3B1408E 18031D04
	s_cmp_eq_u32 s88, 0                                        // 000000005110: BF068058
	s_cbranch_scc0 label_0FAF                                  // 000000005114: BF8405E9
	s_cmp_eq_u32 s89, 0                                        // 000000005118: BF068059
	s_cbranch_scc1 label_0B5D                                  // 00000000511C: BF850195
	v_mov_b32_e32 v8, v1                                       // 000000005120: 7E100301
	v_mov_b32_e32 v9, v1                                       // 000000005124: 7E120301
	s_mov_b32 s60, s6                                          // 000000005128: BEBC0006
	s_mov_b32 s61, s6                                          // 00000000512C: BEBD0006
	v_pk_mul_f32 v[4:5], v[64:65], v[64:65]                    // 000000005130: D3B14004 18028140
	v_pk_mul_f32 v[6:7], v[66:67], v[66:67]                    // 000000005138: D3B14006 18028542
	v_pk_fma_f32 v[4:5], v[4:5], s[78:79], v[8:9]              // 000000005140: D3B04004 1C209D04
	v_pk_fma_f32 v[6:7], v[6:7], s[78:79], v[8:9]              // 000000005148: D3B04006 1C209D06
	v_pk_mul_f32 v[4:5], v[4:5], v[64:65]                      // 000000005150: D3B14004 18028104
	v_pk_mul_f32 v[6:7], v[6:7], v[66:67]                      // 000000005158: D3B14006 18028506
	v_pk_mul_f32 v[4:5], v[4:5], s[60:61]                      // 000000005160: D3B14004 18007904
	v_pk_mul_f32 v[6:7], v[6:7], s[60:61]                      // 000000005168: D3B14006 18007906
	v_exp_f32_e32 v4, v4                                       // 000000005170: 7E084104
	v_exp_f32_e32 v5, v5                                       // 000000005174: 7E0A4105
	v_exp_f32_e32 v6, v6                                       // 000000005178: 7E0C4106
	v_exp_f32_e32 v7, v7                                       // 00000000517C: 7E0E4107
	v_add_f32_e64 v4, v4, 1.0                                  // 000000005180: D1010004 0001E504
	v_add_f32_e64 v5, v5, 1.0                                  // 000000005188: D1010005 0001E505
	v_add_f32_e64 v6, v6, 1.0                                  // 000000005190: D1010006 0001E506
	v_add_f32_e64 v7, v7, 1.0                                  // 000000005198: D1010007 0001E507
	v_rcp_f32_e32 v4, v4                                       // 0000000051A0: 7E084504
	v_rcp_f32_e32 v5, v5                                       // 0000000051A4: 7E0A4505
	v_rcp_f32_e32 v6, v6                                       // 0000000051A8: 7E0C4506
	v_rcp_f32_e32 v7, v7                                       // 0000000051AC: 7E0E4507
	v_mul_f32_e32 v64, v64, v4                                 // 0000000051B0: 0A800940
	v_mul_f32_e32 v65, v65, v5                                 // 0000000051B4: 0A820B41
	v_mul_f32_e32 v66, v66, v6                                 // 0000000051B8: 0A840D42
	v_mul_f32_e32 v67, v67, v7                                 // 0000000051BC: 0A860F43
	v_mul_f32_e32 v64, v64, v104                               // 0000000051C0: 0A80D140
	v_mul_f32_e32 v65, v65, v105                               // 0000000051C4: 0A82D341
	v_mul_f32_e32 v66, v66, v106                               // 0000000051C8: 0A84D542
	v_mul_f32_e32 v67, v67, v107                               // 0000000051CC: 0A86D743
	v_pk_mul_f32 v[4:5], v[68:69], v[68:69]                    // 0000000051D0: D3B14004 18028944
	v_pk_mul_f32 v[6:7], v[70:71], v[70:71]                    // 0000000051D8: D3B14006 18028D46
	v_pk_fma_f32 v[4:5], v[4:5], s[78:79], v[8:9]              // 0000000051E0: D3B04004 1C209D04
	v_pk_fma_f32 v[6:7], v[6:7], s[78:79], v[8:9]              // 0000000051E8: D3B04006 1C209D06
	v_pk_mul_f32 v[4:5], v[4:5], v[68:69]                      // 0000000051F0: D3B14004 18028904
	v_pk_mul_f32 v[6:7], v[6:7], v[70:71]                      // 0000000051F8: D3B14006 18028D06
	v_pk_mul_f32 v[4:5], v[4:5], s[60:61]                      // 000000005200: D3B14004 18007904
	v_pk_mul_f32 v[6:7], v[6:7], s[60:61]                      // 000000005208: D3B14006 18007906
	v_exp_f32_e32 v4, v4                                       // 000000005210: 7E084104
	v_exp_f32_e32 v5, v5                                       // 000000005214: 7E0A4105
	v_exp_f32_e32 v6, v6                                       // 000000005218: 7E0C4106
	v_exp_f32_e32 v7, v7                                       // 00000000521C: 7E0E4107
	v_add_f32_e64 v4, v4, 1.0                                  // 000000005220: D1010004 0001E504
	v_add_f32_e64 v5, v5, 1.0                                  // 000000005228: D1010005 0001E505
	v_add_f32_e64 v6, v6, 1.0                                  // 000000005230: D1010006 0001E506
	v_add_f32_e64 v7, v7, 1.0                                  // 000000005238: D1010007 0001E507
	v_rcp_f32_e32 v4, v4                                       // 000000005240: 7E084504
	v_rcp_f32_e32 v5, v5                                       // 000000005244: 7E0A4505
	v_rcp_f32_e32 v6, v6                                       // 000000005248: 7E0C4506
	v_rcp_f32_e32 v7, v7                                       // 00000000524C: 7E0E4507
	v_mul_f32_e32 v68, v68, v4                                 // 000000005250: 0A880944
	v_mul_f32_e32 v69, v69, v5                                 // 000000005254: 0A8A0B45
	v_mul_f32_e32 v70, v70, v6                                 // 000000005258: 0A8C0D46
	v_mul_f32_e32 v71, v71, v7                                 // 00000000525C: 0A8E0F47
	v_mul_f32_e32 v68, v68, v108                               // 000000005260: 0A88D944
	v_mul_f32_e32 v69, v69, v109                               // 000000005264: 0A8ADB45
	v_mul_f32_e32 v70, v70, v110                               // 000000005268: 0A8CDD46
	v_mul_f32_e32 v71, v71, v111                               // 00000000526C: 0A8EDF47
	v_pk_mul_f32 v[4:5], v[72:73], v[72:73]                    // 000000005270: D3B14004 18029148
	v_pk_mul_f32 v[6:7], v[74:75], v[74:75]                    // 000000005278: D3B14006 1802954A
	v_pk_fma_f32 v[4:5], v[4:5], s[78:79], v[8:9]              // 000000005280: D3B04004 1C209D04
	v_pk_fma_f32 v[6:7], v[6:7], s[78:79], v[8:9]              // 000000005288: D3B04006 1C209D06
	v_pk_mul_f32 v[4:5], v[4:5], v[72:73]                      // 000000005290: D3B14004 18029104
	v_pk_mul_f32 v[6:7], v[6:7], v[74:75]                      // 000000005298: D3B14006 18029506
	v_pk_mul_f32 v[4:5], v[4:5], s[60:61]                      // 0000000052A0: D3B14004 18007904
	v_pk_mul_f32 v[6:7], v[6:7], s[60:61]                      // 0000000052A8: D3B14006 18007906
	v_exp_f32_e32 v4, v4                                       // 0000000052B0: 7E084104
	v_exp_f32_e32 v5, v5                                       // 0000000052B4: 7E0A4105
	v_exp_f32_e32 v6, v6                                       // 0000000052B8: 7E0C4106
	v_exp_f32_e32 v7, v7                                       // 0000000052BC: 7E0E4107
	v_add_f32_e64 v4, v4, 1.0                                  // 0000000052C0: D1010004 0001E504
	v_add_f32_e64 v5, v5, 1.0                                  // 0000000052C8: D1010005 0001E505
	v_add_f32_e64 v6, v6, 1.0                                  // 0000000052D0: D1010006 0001E506
	v_add_f32_e64 v7, v7, 1.0                                  // 0000000052D8: D1010007 0001E507
	v_rcp_f32_e32 v4, v4                                       // 0000000052E0: 7E084504
	v_rcp_f32_e32 v5, v5                                       // 0000000052E4: 7E0A4505
	v_rcp_f32_e32 v6, v6                                       // 0000000052E8: 7E0C4506
	v_rcp_f32_e32 v7, v7                                       // 0000000052EC: 7E0E4507
	v_mul_f32_e32 v72, v72, v4                                 // 0000000052F0: 0A900948
	v_mul_f32_e32 v73, v73, v5                                 // 0000000052F4: 0A920B49
	v_mul_f32_e32 v74, v74, v6                                 // 0000000052F8: 0A940D4A
	v_mul_f32_e32 v75, v75, v7                                 // 0000000052FC: 0A960F4B
	v_mul_f32_e32 v72, v72, v112                               // 000000005300: 0A90E148
	v_mul_f32_e32 v73, v73, v113                               // 000000005304: 0A92E349
	v_mul_f32_e32 v74, v74, v114                               // 000000005308: 0A94E54A
	v_mul_f32_e32 v75, v75, v115                               // 00000000530C: 0A96E74B
	v_pk_mul_f32 v[4:5], v[76:77], v[76:77]                    // 000000005310: D3B14004 1802994C
	v_pk_mul_f32 v[6:7], v[78:79], v[78:79]                    // 000000005318: D3B14006 18029D4E
	v_pk_fma_f32 v[4:5], v[4:5], s[78:79], v[8:9]              // 000000005320: D3B04004 1C209D04
	v_pk_fma_f32 v[6:7], v[6:7], s[78:79], v[8:9]              // 000000005328: D3B04006 1C209D06
	v_pk_mul_f32 v[4:5], v[4:5], v[76:77]                      // 000000005330: D3B14004 18029904
	v_pk_mul_f32 v[6:7], v[6:7], v[78:79]                      // 000000005338: D3B14006 18029D06
	v_pk_mul_f32 v[4:5], v[4:5], s[60:61]                      // 000000005340: D3B14004 18007904
	v_pk_mul_f32 v[6:7], v[6:7], s[60:61]                      // 000000005348: D3B14006 18007906
	v_exp_f32_e32 v4, v4                                       // 000000005350: 7E084104
	v_exp_f32_e32 v5, v5                                       // 000000005354: 7E0A4105
	v_exp_f32_e32 v6, v6                                       // 000000005358: 7E0C4106
	v_exp_f32_e32 v7, v7                                       // 00000000535C: 7E0E4107
	v_add_f32_e64 v4, v4, 1.0                                  // 000000005360: D1010004 0001E504
	v_add_f32_e64 v5, v5, 1.0                                  // 000000005368: D1010005 0001E505
	v_add_f32_e64 v6, v6, 1.0                                  // 000000005370: D1010006 0001E506
	v_add_f32_e64 v7, v7, 1.0                                  // 000000005378: D1010007 0001E507
	v_rcp_f32_e32 v4, v4                                       // 000000005380: 7E084504
	v_rcp_f32_e32 v5, v5                                       // 000000005384: 7E0A4505
	v_rcp_f32_e32 v6, v6                                       // 000000005388: 7E0C4506
	v_rcp_f32_e32 v7, v7                                       // 00000000538C: 7E0E4507
	v_mul_f32_e32 v76, v76, v4                                 // 000000005390: 0A98094C
	v_mul_f32_e32 v77, v77, v5                                 // 000000005394: 0A9A0B4D
	v_mul_f32_e32 v78, v78, v6                                 // 000000005398: 0A9C0D4E
	v_mul_f32_e32 v79, v79, v7                                 // 00000000539C: 0A9E0F4F
	v_mul_f32_e32 v76, v76, v116                               // 0000000053A0: 0A98E94C
	v_mul_f32_e32 v77, v77, v117                               // 0000000053A4: 0A9AEB4D
	v_mul_f32_e32 v78, v78, v118                               // 0000000053A8: 0A9CED4E
	v_mul_f32_e32 v79, v79, v119                               // 0000000053AC: 0A9EEF4F
	v_pk_mul_f32 v[4:5], v[80:81], v[80:81]                    // 0000000053B0: D3B14004 1802A150
	v_pk_mul_f32 v[6:7], v[82:83], v[82:83]                    // 0000000053B8: D3B14006 1802A552
	v_pk_fma_f32 v[4:5], v[4:5], s[78:79], v[8:9]              // 0000000053C0: D3B04004 1C209D04
	v_pk_fma_f32 v[6:7], v[6:7], s[78:79], v[8:9]              // 0000000053C8: D3B04006 1C209D06
	v_pk_mul_f32 v[4:5], v[4:5], v[80:81]                      // 0000000053D0: D3B14004 1802A104
	v_pk_mul_f32 v[6:7], v[6:7], v[82:83]                      // 0000000053D8: D3B14006 1802A506
	v_pk_mul_f32 v[4:5], v[4:5], s[60:61]                      // 0000000053E0: D3B14004 18007904
	v_pk_mul_f32 v[6:7], v[6:7], s[60:61]                      // 0000000053E8: D3B14006 18007906
	v_exp_f32_e32 v4, v4                                       // 0000000053F0: 7E084104
	v_exp_f32_e32 v5, v5                                       // 0000000053F4: 7E0A4105
	v_exp_f32_e32 v6, v6                                       // 0000000053F8: 7E0C4106
	v_exp_f32_e32 v7, v7                                       // 0000000053FC: 7E0E4107
	v_add_f32_e64 v4, v4, 1.0                                  // 000000005400: D1010004 0001E504
	v_add_f32_e64 v5, v5, 1.0                                  // 000000005408: D1010005 0001E505
	v_add_f32_e64 v6, v6, 1.0                                  // 000000005410: D1010006 0001E506
	v_add_f32_e64 v7, v7, 1.0                                  // 000000005418: D1010007 0001E507
	v_rcp_f32_e32 v4, v4                                       // 000000005420: 7E084504
	v_rcp_f32_e32 v5, v5                                       // 000000005424: 7E0A4505
	v_rcp_f32_e32 v6, v6                                       // 000000005428: 7E0C4506
	v_rcp_f32_e32 v7, v7                                       // 00000000542C: 7E0E4507
	v_mul_f32_e32 v80, v80, v4                                 // 000000005430: 0AA00950
	v_mul_f32_e32 v81, v81, v5                                 // 000000005434: 0AA20B51
	v_mul_f32_e32 v82, v82, v6                                 // 000000005438: 0AA40D52
	v_mul_f32_e32 v83, v83, v7                                 // 00000000543C: 0AA60F53
	v_mul_f32_e32 v80, v80, v120                               // 000000005440: 0AA0F150
	v_mul_f32_e32 v81, v81, v121                               // 000000005444: 0AA2F351
	v_mul_f32_e32 v82, v82, v122                               // 000000005448: 0AA4F552
	v_mul_f32_e32 v83, v83, v123                               // 00000000544C: 0AA6F753
	v_pk_mul_f32 v[4:5], v[84:85], v[84:85]                    // 000000005450: D3B14004 1802A954
	v_pk_mul_f32 v[6:7], v[86:87], v[86:87]                    // 000000005458: D3B14006 1802AD56
	v_pk_fma_f32 v[4:5], v[4:5], s[78:79], v[8:9]              // 000000005460: D3B04004 1C209D04
	v_pk_fma_f32 v[6:7], v[6:7], s[78:79], v[8:9]              // 000000005468: D3B04006 1C209D06
	v_pk_mul_f32 v[4:5], v[4:5], v[84:85]                      // 000000005470: D3B14004 1802A904
	v_pk_mul_f32 v[6:7], v[6:7], v[86:87]                      // 000000005478: D3B14006 1802AD06
	v_pk_mul_f32 v[4:5], v[4:5], s[60:61]                      // 000000005480: D3B14004 18007904
	v_pk_mul_f32 v[6:7], v[6:7], s[60:61]                      // 000000005488: D3B14006 18007906
	v_exp_f32_e32 v4, v4                                       // 000000005490: 7E084104
	v_exp_f32_e32 v5, v5                                       // 000000005494: 7E0A4105
	v_exp_f32_e32 v6, v6                                       // 000000005498: 7E0C4106
	v_exp_f32_e32 v7, v7                                       // 00000000549C: 7E0E4107
	v_add_f32_e64 v4, v4, 1.0                                  // 0000000054A0: D1010004 0001E504
	v_add_f32_e64 v5, v5, 1.0                                  // 0000000054A8: D1010005 0001E505
	v_add_f32_e64 v6, v6, 1.0                                  // 0000000054B0: D1010006 0001E506
	v_add_f32_e64 v7, v7, 1.0                                  // 0000000054B8: D1010007 0001E507
	v_rcp_f32_e32 v4, v4                                       // 0000000054C0: 7E084504
	v_rcp_f32_e32 v5, v5                                       // 0000000054C4: 7E0A4505
	v_rcp_f32_e32 v6, v6                                       // 0000000054C8: 7E0C4506
	v_rcp_f32_e32 v7, v7                                       // 0000000054CC: 7E0E4507
	v_mul_f32_e32 v84, v84, v4                                 // 0000000054D0: 0AA80954
	v_mul_f32_e32 v85, v85, v5                                 // 0000000054D4: 0AAA0B55
	v_mul_f32_e32 v86, v86, v6                                 // 0000000054D8: 0AAC0D56
	v_mul_f32_e32 v87, v87, v7                                 // 0000000054DC: 0AAE0F57
	v_mul_f32_e32 v84, v84, v124                               // 0000000054E0: 0AA8F954
	v_mul_f32_e32 v85, v85, v125                               // 0000000054E4: 0AAAFB55
	v_mul_f32_e32 v86, v86, v126                               // 0000000054E8: 0AACFD56
	v_mul_f32_e32 v87, v87, v127                               // 0000000054EC: 0AAEFF57
	v_pk_mul_f32 v[4:5], v[88:89], v[88:89]                    // 0000000054F0: D3B14004 1802B158
	v_pk_mul_f32 v[6:7], v[90:91], v[90:91]                    // 0000000054F8: D3B14006 1802B55A
	v_pk_fma_f32 v[4:5], v[4:5], s[78:79], v[8:9]              // 000000005500: D3B04004 1C209D04
	v_pk_fma_f32 v[6:7], v[6:7], s[78:79], v[8:9]              // 000000005508: D3B04006 1C209D06
	v_pk_mul_f32 v[4:5], v[4:5], v[88:89]                      // 000000005510: D3B14004 1802B104
	v_pk_mul_f32 v[6:7], v[6:7], v[90:91]                      // 000000005518: D3B14006 1802B506
	v_pk_mul_f32 v[4:5], v[4:5], s[60:61]                      // 000000005520: D3B14004 18007904
	v_pk_mul_f32 v[6:7], v[6:7], s[60:61]                      // 000000005528: D3B14006 18007906
	v_exp_f32_e32 v4, v4                                       // 000000005530: 7E084104
	v_exp_f32_e32 v5, v5                                       // 000000005534: 7E0A4105
	v_exp_f32_e32 v6, v6                                       // 000000005538: 7E0C4106
	v_exp_f32_e32 v7, v7                                       // 00000000553C: 7E0E4107
	v_add_f32_e64 v4, v4, 1.0                                  // 000000005540: D1010004 0001E504
	v_add_f32_e64 v5, v5, 1.0                                  // 000000005548: D1010005 0001E505
	v_add_f32_e64 v6, v6, 1.0                                  // 000000005550: D1010006 0001E506
	v_add_f32_e64 v7, v7, 1.0                                  // 000000005558: D1010007 0001E507
	v_rcp_f32_e32 v4, v4                                       // 000000005560: 7E084504
	v_rcp_f32_e32 v5, v5                                       // 000000005564: 7E0A4505
	v_rcp_f32_e32 v6, v6                                       // 000000005568: 7E0C4506
	v_rcp_f32_e32 v7, v7                                       // 00000000556C: 7E0E4507
	v_mul_f32_e32 v88, v88, v4                                 // 000000005570: 0AB00958
	v_mul_f32_e32 v89, v89, v5                                 // 000000005574: 0AB20B59
	v_mul_f32_e32 v90, v90, v6                                 // 000000005578: 0AB40D5A
	v_mul_f32_e32 v91, v91, v7                                 // 00000000557C: 0AB60F5B
	v_mul_f32_e32 v88, v88, v128                               // 000000005580: 0AB10158
	v_mul_f32_e32 v89, v89, v129                               // 000000005584: 0AB30359
	v_mul_f32_e32 v90, v90, v130                               // 000000005588: 0AB5055A
	v_mul_f32_e32 v91, v91, v131                               // 00000000558C: 0AB7075B
	v_pk_mul_f32 v[4:5], v[92:93], v[92:93]                    // 000000005590: D3B14004 1802B95C
	v_pk_mul_f32 v[6:7], v[94:95], v[94:95]                    // 000000005598: D3B14006 1802BD5E
	v_pk_fma_f32 v[4:5], v[4:5], s[78:79], v[8:9]              // 0000000055A0: D3B04004 1C209D04
	v_pk_fma_f32 v[6:7], v[6:7], s[78:79], v[8:9]              // 0000000055A8: D3B04006 1C209D06
	v_pk_mul_f32 v[4:5], v[4:5], v[92:93]                      // 0000000055B0: D3B14004 1802B904
	v_pk_mul_f32 v[6:7], v[6:7], v[94:95]                      // 0000000055B8: D3B14006 1802BD06
	v_pk_mul_f32 v[4:5], v[4:5], s[60:61]                      // 0000000055C0: D3B14004 18007904
	v_pk_mul_f32 v[6:7], v[6:7], s[60:61]                      // 0000000055C8: D3B14006 18007906
	v_exp_f32_e32 v4, v4                                       // 0000000055D0: 7E084104
	v_exp_f32_e32 v5, v5                                       // 0000000055D4: 7E0A4105
	v_exp_f32_e32 v6, v6                                       // 0000000055D8: 7E0C4106
	v_exp_f32_e32 v7, v7                                       // 0000000055DC: 7E0E4107
	v_add_f32_e64 v4, v4, 1.0                                  // 0000000055E0: D1010004 0001E504
	v_add_f32_e64 v5, v5, 1.0                                  // 0000000055E8: D1010005 0001E505
	v_add_f32_e64 v6, v6, 1.0                                  // 0000000055F0: D1010006 0001E506
	v_add_f32_e64 v7, v7, 1.0                                  // 0000000055F8: D1010007 0001E507
	v_rcp_f32_e32 v4, v4                                       // 000000005600: 7E084504
	v_rcp_f32_e32 v5, v5                                       // 000000005604: 7E0A4505
	v_rcp_f32_e32 v6, v6                                       // 000000005608: 7E0C4506
	v_rcp_f32_e32 v7, v7                                       // 00000000560C: 7E0E4507
	v_mul_f32_e32 v92, v92, v4                                 // 000000005610: 0AB8095C
	v_mul_f32_e32 v93, v93, v5                                 // 000000005614: 0ABA0B5D
	v_mul_f32_e32 v94, v94, v6                                 // 000000005618: 0ABC0D5E
	v_mul_f32_e32 v95, v95, v7                                 // 00000000561C: 0ABE0F5F
	v_mul_f32_e32 v92, v92, v132                               // 000000005620: 0AB9095C
	v_mul_f32_e32 v93, v93, v133                               // 000000005624: 0ABB0B5D
	v_mul_f32_e32 v94, v94, v134                               // 000000005628: 0ABD0D5E
	v_mul_f32_e32 v95, v95, v135                               // 00000000562C: 0ABF0F5F
	v_pk_mul_f32 v[4:5], v[96:97], v[96:97]                    // 000000005630: D3B14004 1802C160
	v_pk_mul_f32 v[6:7], v[98:99], v[98:99]                    // 000000005638: D3B14006 1802C562
	v_pk_fma_f32 v[4:5], v[4:5], s[78:79], v[8:9]              // 000000005640: D3B04004 1C209D04
	v_pk_fma_f32 v[6:7], v[6:7], s[78:79], v[8:9]              // 000000005648: D3B04006 1C209D06
	v_pk_mul_f32 v[4:5], v[4:5], v[96:97]                      // 000000005650: D3B14004 1802C104
	v_pk_mul_f32 v[6:7], v[6:7], v[98:99]                      // 000000005658: D3B14006 1802C506
	v_pk_mul_f32 v[4:5], v[4:5], s[60:61]                      // 000000005660: D3B14004 18007904
	v_pk_mul_f32 v[6:7], v[6:7], s[60:61]                      // 000000005668: D3B14006 18007906
	v_exp_f32_e32 v4, v4                                       // 000000005670: 7E084104
	v_exp_f32_e32 v5, v5                                       // 000000005674: 7E0A4105
	v_exp_f32_e32 v6, v6                                       // 000000005678: 7E0C4106
	v_exp_f32_e32 v7, v7                                       // 00000000567C: 7E0E4107
	v_add_f32_e64 v4, v4, 1.0                                  // 000000005680: D1010004 0001E504
	v_add_f32_e64 v5, v5, 1.0                                  // 000000005688: D1010005 0001E505
	v_add_f32_e64 v6, v6, 1.0                                  // 000000005690: D1010006 0001E506
	v_add_f32_e64 v7, v7, 1.0                                  // 000000005698: D1010007 0001E507
	v_rcp_f32_e32 v4, v4                                       // 0000000056A0: 7E084504
	v_rcp_f32_e32 v5, v5                                       // 0000000056A4: 7E0A4505
	v_rcp_f32_e32 v6, v6                                       // 0000000056A8: 7E0C4506
	v_rcp_f32_e32 v7, v7                                       // 0000000056AC: 7E0E4507
	v_mul_f32_e32 v96, v96, v4                                 // 0000000056B0: 0AC00960
	v_mul_f32_e32 v97, v97, v5                                 // 0000000056B4: 0AC20B61
	v_mul_f32_e32 v98, v98, v6                                 // 0000000056B8: 0AC40D62
	v_mul_f32_e32 v99, v99, v7                                 // 0000000056BC: 0AC60F63
	v_mul_f32_e32 v96, v96, v136                               // 0000000056C0: 0AC11160
	v_mul_f32_e32 v97, v97, v137                               // 0000000056C4: 0AC31361
	v_mul_f32_e32 v98, v98, v138                               // 0000000056C8: 0AC51562
	v_mul_f32_e32 v99, v99, v139                               // 0000000056CC: 0AC71763
	v_pk_mul_f32 v[4:5], v[100:101], v[100:101]                // 0000000056D0: D3B14004 1802C964
	v_pk_mul_f32 v[6:7], v[102:103], v[102:103]                // 0000000056D8: D3B14006 1802CD66
	v_pk_fma_f32 v[4:5], v[4:5], s[78:79], v[8:9]              // 0000000056E0: D3B04004 1C209D04
	v_pk_fma_f32 v[6:7], v[6:7], s[78:79], v[8:9]              // 0000000056E8: D3B04006 1C209D06
	v_pk_mul_f32 v[4:5], v[4:5], v[100:101]                    // 0000000056F0: D3B14004 1802C904
	v_pk_mul_f32 v[6:7], v[6:7], v[102:103]                    // 0000000056F8: D3B14006 1802CD06
	v_pk_mul_f32 v[4:5], v[4:5], s[60:61]                      // 000000005700: D3B14004 18007904
	v_pk_mul_f32 v[6:7], v[6:7], s[60:61]                      // 000000005708: D3B14006 18007906
	v_exp_f32_e32 v4, v4                                       // 000000005710: 7E084104
	v_exp_f32_e32 v5, v5                                       // 000000005714: 7E0A4105
	v_exp_f32_e32 v6, v6                                       // 000000005718: 7E0C4106
	v_exp_f32_e32 v7, v7                                       // 00000000571C: 7E0E4107
	v_add_f32_e64 v4, v4, 1.0                                  // 000000005720: D1010004 0001E504
	v_add_f32_e64 v5, v5, 1.0                                  // 000000005728: D1010005 0001E505
	v_add_f32_e64 v6, v6, 1.0                                  // 000000005730: D1010006 0001E506
	v_add_f32_e64 v7, v7, 1.0                                  // 000000005738: D1010007 0001E507
	v_rcp_f32_e32 v4, v4                                       // 000000005740: 7E084504
	v_rcp_f32_e32 v5, v5                                       // 000000005744: 7E0A4505
	v_rcp_f32_e32 v6, v6                                       // 000000005748: 7E0C4506
	v_rcp_f32_e32 v7, v7                                       // 00000000574C: 7E0E4507
	v_mul_f32_e32 v100, v100, v4                               // 000000005750: 0AC80964
	v_mul_f32_e32 v101, v101, v5                               // 000000005754: 0ACA0B65
	v_mul_f32_e32 v102, v102, v6                               // 000000005758: 0ACC0D66
	v_mul_f32_e32 v103, v103, v7                               // 00000000575C: 0ACE0F67
	v_mul_f32_e32 v100, v100, v140                             // 000000005760: 0AC91964
	v_mul_f32_e32 v101, v101, v141                             // 000000005764: 0ACB1B65
	v_mul_f32_e32 v102, v102, v142                             // 000000005768: 0ACD1D66
	v_mul_f32_e32 v103, v103, v143                             // 00000000576C: 0ACF1F67
	s_branch label_0C9D                                        // 000000005770: BF820140

0000000000005774 <label_0B5D>:
	v_mul_f32_e64 v4, -v64, s6                                 // 000000005774: D1050004 20000D40
	v_mul_f32_e64 v5, -v65, s6                                 // 00000000577C: D1050005 20000D41
	v_mul_f32_e64 v6, -v66, s6                                 // 000000005784: D1050006 20000D42
	v_mul_f32_e64 v7, -v67, s6                                 // 00000000578C: D1050007 20000D43
	v_exp_f32_e32 v4, v4                                       // 000000005794: 7E084104
	v_exp_f32_e32 v5, v5                                       // 000000005798: 7E0A4105
	v_exp_f32_e32 v6, v6                                       // 00000000579C: 7E0C4106
	v_exp_f32_e32 v7, v7                                       // 0000000057A0: 7E0E4107
	v_add_f32_e64 v4, v4, 1.0                                  // 0000000057A4: D1010004 0001E504
	v_add_f32_e64 v5, v5, 1.0                                  // 0000000057AC: D1010005 0001E505
	v_add_f32_e64 v6, v6, 1.0                                  // 0000000057B4: D1010006 0001E506
	v_add_f32_e64 v7, v7, 1.0                                  // 0000000057BC: D1010007 0001E507
	v_rcp_f32_e32 v4, v4                                       // 0000000057C4: 7E084504
	v_rcp_f32_e32 v5, v5                                       // 0000000057C8: 7E0A4505
	v_rcp_f32_e32 v6, v6                                       // 0000000057CC: 7E0C4506
	v_rcp_f32_e32 v7, v7                                       // 0000000057D0: 7E0E4507
	v_mul_f32_e32 v64, v64, v4                                 // 0000000057D4: 0A800940
	v_mul_f32_e32 v65, v65, v5                                 // 0000000057D8: 0A820B41
	v_mul_f32_e32 v66, v66, v6                                 // 0000000057DC: 0A840D42
	v_mul_f32_e32 v67, v67, v7                                 // 0000000057E0: 0A860F43
	v_mul_f32_e32 v64, v64, v104                               // 0000000057E4: 0A80D140
	v_mul_f32_e32 v65, v65, v105                               // 0000000057E8: 0A82D341
	v_mul_f32_e32 v66, v66, v106                               // 0000000057EC: 0A84D542
	v_mul_f32_e32 v67, v67, v107                               // 0000000057F0: 0A86D743
	v_mul_f32_e64 v4, -v68, s6                                 // 0000000057F4: D1050004 20000D44
	v_mul_f32_e64 v5, -v69, s6                                 // 0000000057FC: D1050005 20000D45
	v_mul_f32_e64 v6, -v70, s6                                 // 000000005804: D1050006 20000D46
	v_mul_f32_e64 v7, -v71, s6                                 // 00000000580C: D1050007 20000D47
	v_exp_f32_e32 v4, v4                                       // 000000005814: 7E084104
	v_exp_f32_e32 v5, v5                                       // 000000005818: 7E0A4105
	v_exp_f32_e32 v6, v6                                       // 00000000581C: 7E0C4106
	v_exp_f32_e32 v7, v7                                       // 000000005820: 7E0E4107
	v_add_f32_e64 v4, v4, 1.0                                  // 000000005824: D1010004 0001E504
	v_add_f32_e64 v5, v5, 1.0                                  // 00000000582C: D1010005 0001E505
	v_add_f32_e64 v6, v6, 1.0                                  // 000000005834: D1010006 0001E506
	v_add_f32_e64 v7, v7, 1.0                                  // 00000000583C: D1010007 0001E507
	v_rcp_f32_e32 v4, v4                                       // 000000005844: 7E084504
	v_rcp_f32_e32 v5, v5                                       // 000000005848: 7E0A4505
	v_rcp_f32_e32 v6, v6                                       // 00000000584C: 7E0C4506
	v_rcp_f32_e32 v7, v7                                       // 000000005850: 7E0E4507
	v_mul_f32_e32 v68, v68, v4                                 // 000000005854: 0A880944
	v_mul_f32_e32 v69, v69, v5                                 // 000000005858: 0A8A0B45
	v_mul_f32_e32 v70, v70, v6                                 // 00000000585C: 0A8C0D46
	v_mul_f32_e32 v71, v71, v7                                 // 000000005860: 0A8E0F47
	v_mul_f32_e32 v68, v68, v108                               // 000000005864: 0A88D944
	v_mul_f32_e32 v69, v69, v109                               // 000000005868: 0A8ADB45
	v_mul_f32_e32 v70, v70, v110                               // 00000000586C: 0A8CDD46
	v_mul_f32_e32 v71, v71, v111                               // 000000005870: 0A8EDF47
	v_mul_f32_e64 v4, -v72, s6                                 // 000000005874: D1050004 20000D48
	v_mul_f32_e64 v5, -v73, s6                                 // 00000000587C: D1050005 20000D49
	v_mul_f32_e64 v6, -v74, s6                                 // 000000005884: D1050006 20000D4A
	v_mul_f32_e64 v7, -v75, s6                                 // 00000000588C: D1050007 20000D4B
	v_exp_f32_e32 v4, v4                                       // 000000005894: 7E084104
	v_exp_f32_e32 v5, v5                                       // 000000005898: 7E0A4105
	v_exp_f32_e32 v6, v6                                       // 00000000589C: 7E0C4106
	v_exp_f32_e32 v7, v7                                       // 0000000058A0: 7E0E4107
	v_add_f32_e64 v4, v4, 1.0                                  // 0000000058A4: D1010004 0001E504
	v_add_f32_e64 v5, v5, 1.0                                  // 0000000058AC: D1010005 0001E505
	v_add_f32_e64 v6, v6, 1.0                                  // 0000000058B4: D1010006 0001E506
	v_add_f32_e64 v7, v7, 1.0                                  // 0000000058BC: D1010007 0001E507
	v_rcp_f32_e32 v4, v4                                       // 0000000058C4: 7E084504
	v_rcp_f32_e32 v5, v5                                       // 0000000058C8: 7E0A4505
	v_rcp_f32_e32 v6, v6                                       // 0000000058CC: 7E0C4506
	v_rcp_f32_e32 v7, v7                                       // 0000000058D0: 7E0E4507
	v_mul_f32_e32 v72, v72, v4                                 // 0000000058D4: 0A900948
	v_mul_f32_e32 v73, v73, v5                                 // 0000000058D8: 0A920B49
	v_mul_f32_e32 v74, v74, v6                                 // 0000000058DC: 0A940D4A
	v_mul_f32_e32 v75, v75, v7                                 // 0000000058E0: 0A960F4B
	v_mul_f32_e32 v72, v72, v112                               // 0000000058E4: 0A90E148
	v_mul_f32_e32 v73, v73, v113                               // 0000000058E8: 0A92E349
	v_mul_f32_e32 v74, v74, v114                               // 0000000058EC: 0A94E54A
	v_mul_f32_e32 v75, v75, v115                               // 0000000058F0: 0A96E74B
	v_mul_f32_e64 v4, -v76, s6                                 // 0000000058F4: D1050004 20000D4C
	v_mul_f32_e64 v5, -v77, s6                                 // 0000000058FC: D1050005 20000D4D
	v_mul_f32_e64 v6, -v78, s6                                 // 000000005904: D1050006 20000D4E
	v_mul_f32_e64 v7, -v79, s6                                 // 00000000590C: D1050007 20000D4F
	v_exp_f32_e32 v4, v4                                       // 000000005914: 7E084104
	v_exp_f32_e32 v5, v5                                       // 000000005918: 7E0A4105
	v_exp_f32_e32 v6, v6                                       // 00000000591C: 7E0C4106
	v_exp_f32_e32 v7, v7                                       // 000000005920: 7E0E4107
	v_add_f32_e64 v4, v4, 1.0                                  // 000000005924: D1010004 0001E504
	v_add_f32_e64 v5, v5, 1.0                                  // 00000000592C: D1010005 0001E505
	v_add_f32_e64 v6, v6, 1.0                                  // 000000005934: D1010006 0001E506
	v_add_f32_e64 v7, v7, 1.0                                  // 00000000593C: D1010007 0001E507
	v_rcp_f32_e32 v4, v4                                       // 000000005944: 7E084504
	v_rcp_f32_e32 v5, v5                                       // 000000005948: 7E0A4505
	v_rcp_f32_e32 v6, v6                                       // 00000000594C: 7E0C4506
	v_rcp_f32_e32 v7, v7                                       // 000000005950: 7E0E4507
	v_mul_f32_e32 v76, v76, v4                                 // 000000005954: 0A98094C
	v_mul_f32_e32 v77, v77, v5                                 // 000000005958: 0A9A0B4D
	v_mul_f32_e32 v78, v78, v6                                 // 00000000595C: 0A9C0D4E
	v_mul_f32_e32 v79, v79, v7                                 // 000000005960: 0A9E0F4F
	v_mul_f32_e32 v76, v76, v116                               // 000000005964: 0A98E94C
	v_mul_f32_e32 v77, v77, v117                               // 000000005968: 0A9AEB4D
	v_mul_f32_e32 v78, v78, v118                               // 00000000596C: 0A9CED4E
	v_mul_f32_e32 v79, v79, v119                               // 000000005970: 0A9EEF4F
	v_mul_f32_e64 v4, -v80, s6                                 // 000000005974: D1050004 20000D50
	v_mul_f32_e64 v5, -v81, s6                                 // 00000000597C: D1050005 20000D51
	v_mul_f32_e64 v6, -v82, s6                                 // 000000005984: D1050006 20000D52
	v_mul_f32_e64 v7, -v83, s6                                 // 00000000598C: D1050007 20000D53
	v_exp_f32_e32 v4, v4                                       // 000000005994: 7E084104
	v_exp_f32_e32 v5, v5                                       // 000000005998: 7E0A4105
	v_exp_f32_e32 v6, v6                                       // 00000000599C: 7E0C4106
	v_exp_f32_e32 v7, v7                                       // 0000000059A0: 7E0E4107
	v_add_f32_e64 v4, v4, 1.0                                  // 0000000059A4: D1010004 0001E504
	v_add_f32_e64 v5, v5, 1.0                                  // 0000000059AC: D1010005 0001E505
	v_add_f32_e64 v6, v6, 1.0                                  // 0000000059B4: D1010006 0001E506
	v_add_f32_e64 v7, v7, 1.0                                  // 0000000059BC: D1010007 0001E507
	v_rcp_f32_e32 v4, v4                                       // 0000000059C4: 7E084504
	v_rcp_f32_e32 v5, v5                                       // 0000000059C8: 7E0A4505
	v_rcp_f32_e32 v6, v6                                       // 0000000059CC: 7E0C4506
	v_rcp_f32_e32 v7, v7                                       // 0000000059D0: 7E0E4507
	v_mul_f32_e32 v80, v80, v4                                 // 0000000059D4: 0AA00950
	v_mul_f32_e32 v81, v81, v5                                 // 0000000059D8: 0AA20B51
	v_mul_f32_e32 v82, v82, v6                                 // 0000000059DC: 0AA40D52
	v_mul_f32_e32 v83, v83, v7                                 // 0000000059E0: 0AA60F53
	v_mul_f32_e32 v80, v80, v120                               // 0000000059E4: 0AA0F150
	v_mul_f32_e32 v81, v81, v121                               // 0000000059E8: 0AA2F351
	v_mul_f32_e32 v82, v82, v122                               // 0000000059EC: 0AA4F552
	v_mul_f32_e32 v83, v83, v123                               // 0000000059F0: 0AA6F753
	v_mul_f32_e64 v4, -v84, s6                                 // 0000000059F4: D1050004 20000D54
	v_mul_f32_e64 v5, -v85, s6                                 // 0000000059FC: D1050005 20000D55
	v_mul_f32_e64 v6, -v86, s6                                 // 000000005A04: D1050006 20000D56
	v_mul_f32_e64 v7, -v87, s6                                 // 000000005A0C: D1050007 20000D57
	v_exp_f32_e32 v4, v4                                       // 000000005A14: 7E084104
	v_exp_f32_e32 v5, v5                                       // 000000005A18: 7E0A4105
	v_exp_f32_e32 v6, v6                                       // 000000005A1C: 7E0C4106
	v_exp_f32_e32 v7, v7                                       // 000000005A20: 7E0E4107
	v_add_f32_e64 v4, v4, 1.0                                  // 000000005A24: D1010004 0001E504
	v_add_f32_e64 v5, v5, 1.0                                  // 000000005A2C: D1010005 0001E505
	v_add_f32_e64 v6, v6, 1.0                                  // 000000005A34: D1010006 0001E506
	v_add_f32_e64 v7, v7, 1.0                                  // 000000005A3C: D1010007 0001E507
	v_rcp_f32_e32 v4, v4                                       // 000000005A44: 7E084504
	v_rcp_f32_e32 v5, v5                                       // 000000005A48: 7E0A4505
	v_rcp_f32_e32 v6, v6                                       // 000000005A4C: 7E0C4506
	v_rcp_f32_e32 v7, v7                                       // 000000005A50: 7E0E4507
	v_mul_f32_e32 v84, v84, v4                                 // 000000005A54: 0AA80954
	v_mul_f32_e32 v85, v85, v5                                 // 000000005A58: 0AAA0B55
	v_mul_f32_e32 v86, v86, v6                                 // 000000005A5C: 0AAC0D56
	v_mul_f32_e32 v87, v87, v7                                 // 000000005A60: 0AAE0F57
	v_mul_f32_e32 v84, v84, v124                               // 000000005A64: 0AA8F954
	v_mul_f32_e32 v85, v85, v125                               // 000000005A68: 0AAAFB55
	v_mul_f32_e32 v86, v86, v126                               // 000000005A6C: 0AACFD56
	v_mul_f32_e32 v87, v87, v127                               // 000000005A70: 0AAEFF57
	v_mul_f32_e64 v4, -v88, s6                                 // 000000005A74: D1050004 20000D58
	v_mul_f32_e64 v5, -v89, s6                                 // 000000005A7C: D1050005 20000D59
	v_mul_f32_e64 v6, -v90, s6                                 // 000000005A84: D1050006 20000D5A
	v_mul_f32_e64 v7, -v91, s6                                 // 000000005A8C: D1050007 20000D5B
	v_exp_f32_e32 v4, v4                                       // 000000005A94: 7E084104
	v_exp_f32_e32 v5, v5                                       // 000000005A98: 7E0A4105
	v_exp_f32_e32 v6, v6                                       // 000000005A9C: 7E0C4106
	v_exp_f32_e32 v7, v7                                       // 000000005AA0: 7E0E4107
	v_add_f32_e64 v4, v4, 1.0                                  // 000000005AA4: D1010004 0001E504
	v_add_f32_e64 v5, v5, 1.0                                  // 000000005AAC: D1010005 0001E505
	v_add_f32_e64 v6, v6, 1.0                                  // 000000005AB4: D1010006 0001E506
	v_add_f32_e64 v7, v7, 1.0                                  // 000000005ABC: D1010007 0001E507
	v_rcp_f32_e32 v4, v4                                       // 000000005AC4: 7E084504
	v_rcp_f32_e32 v5, v5                                       // 000000005AC8: 7E0A4505
	v_rcp_f32_e32 v6, v6                                       // 000000005ACC: 7E0C4506
	v_rcp_f32_e32 v7, v7                                       // 000000005AD0: 7E0E4507
	v_mul_f32_e32 v88, v88, v4                                 // 000000005AD4: 0AB00958
	v_mul_f32_e32 v89, v89, v5                                 // 000000005AD8: 0AB20B59
	v_mul_f32_e32 v90, v90, v6                                 // 000000005ADC: 0AB40D5A
	v_mul_f32_e32 v91, v91, v7                                 // 000000005AE0: 0AB60F5B
	v_mul_f32_e32 v88, v88, v128                               // 000000005AE4: 0AB10158
	v_mul_f32_e32 v89, v89, v129                               // 000000005AE8: 0AB30359
	v_mul_f32_e32 v90, v90, v130                               // 000000005AEC: 0AB5055A
	v_mul_f32_e32 v91, v91, v131                               // 000000005AF0: 0AB7075B
	v_mul_f32_e64 v4, -v92, s6                                 // 000000005AF4: D1050004 20000D5C
	v_mul_f32_e64 v5, -v93, s6                                 // 000000005AFC: D1050005 20000D5D
	v_mul_f32_e64 v6, -v94, s6                                 // 000000005B04: D1050006 20000D5E
	v_mul_f32_e64 v7, -v95, s6                                 // 000000005B0C: D1050007 20000D5F
	v_exp_f32_e32 v4, v4                                       // 000000005B14: 7E084104
	v_exp_f32_e32 v5, v5                                       // 000000005B18: 7E0A4105
	v_exp_f32_e32 v6, v6                                       // 000000005B1C: 7E0C4106
	v_exp_f32_e32 v7, v7                                       // 000000005B20: 7E0E4107
	v_add_f32_e64 v4, v4, 1.0                                  // 000000005B24: D1010004 0001E504
	v_add_f32_e64 v5, v5, 1.0                                  // 000000005B2C: D1010005 0001E505
	v_add_f32_e64 v6, v6, 1.0                                  // 000000005B34: D1010006 0001E506
	v_add_f32_e64 v7, v7, 1.0                                  // 000000005B3C: D1010007 0001E507
	v_rcp_f32_e32 v4, v4                                       // 000000005B44: 7E084504
	v_rcp_f32_e32 v5, v5                                       // 000000005B48: 7E0A4505
	v_rcp_f32_e32 v6, v6                                       // 000000005B4C: 7E0C4506
	v_rcp_f32_e32 v7, v7                                       // 000000005B50: 7E0E4507
	v_mul_f32_e32 v92, v92, v4                                 // 000000005B54: 0AB8095C
	v_mul_f32_e32 v93, v93, v5                                 // 000000005B58: 0ABA0B5D
	v_mul_f32_e32 v94, v94, v6                                 // 000000005B5C: 0ABC0D5E
	v_mul_f32_e32 v95, v95, v7                                 // 000000005B60: 0ABE0F5F
	v_mul_f32_e32 v92, v92, v132                               // 000000005B64: 0AB9095C
	v_mul_f32_e32 v93, v93, v133                               // 000000005B68: 0ABB0B5D
	v_mul_f32_e32 v94, v94, v134                               // 000000005B6C: 0ABD0D5E
	v_mul_f32_e32 v95, v95, v135                               // 000000005B70: 0ABF0F5F
	v_mul_f32_e64 v4, -v96, s6                                 // 000000005B74: D1050004 20000D60
	v_mul_f32_e64 v5, -v97, s6                                 // 000000005B7C: D1050005 20000D61
	v_mul_f32_e64 v6, -v98, s6                                 // 000000005B84: D1050006 20000D62
	v_mul_f32_e64 v7, -v99, s6                                 // 000000005B8C: D1050007 20000D63
	v_exp_f32_e32 v4, v4                                       // 000000005B94: 7E084104
	v_exp_f32_e32 v5, v5                                       // 000000005B98: 7E0A4105
	v_exp_f32_e32 v6, v6                                       // 000000005B9C: 7E0C4106
	v_exp_f32_e32 v7, v7                                       // 000000005BA0: 7E0E4107
	v_add_f32_e64 v4, v4, 1.0                                  // 000000005BA4: D1010004 0001E504
	v_add_f32_e64 v5, v5, 1.0                                  // 000000005BAC: D1010005 0001E505
	v_add_f32_e64 v6, v6, 1.0                                  // 000000005BB4: D1010006 0001E506
	v_add_f32_e64 v7, v7, 1.0                                  // 000000005BBC: D1010007 0001E507
	v_rcp_f32_e32 v4, v4                                       // 000000005BC4: 7E084504
	v_rcp_f32_e32 v5, v5                                       // 000000005BC8: 7E0A4505
	v_rcp_f32_e32 v6, v6                                       // 000000005BCC: 7E0C4506
	v_rcp_f32_e32 v7, v7                                       // 000000005BD0: 7E0E4507
	v_mul_f32_e32 v96, v96, v4                                 // 000000005BD4: 0AC00960
	v_mul_f32_e32 v97, v97, v5                                 // 000000005BD8: 0AC20B61
	v_mul_f32_e32 v98, v98, v6                                 // 000000005BDC: 0AC40D62
	v_mul_f32_e32 v99, v99, v7                                 // 000000005BE0: 0AC60F63
	v_mul_f32_e32 v96, v96, v136                               // 000000005BE4: 0AC11160
	v_mul_f32_e32 v97, v97, v137                               // 000000005BE8: 0AC31361
	v_mul_f32_e32 v98, v98, v138                               // 000000005BEC: 0AC51562
	v_mul_f32_e32 v99, v99, v139                               // 000000005BF0: 0AC71763
	v_mul_f32_e64 v4, -v100, s6                                // 000000005BF4: D1050004 20000D64
	v_mul_f32_e64 v5, -v101, s6                                // 000000005BFC: D1050005 20000D65
	v_mul_f32_e64 v6, -v102, s6                                // 000000005C04: D1050006 20000D66
	v_mul_f32_e64 v7, -v103, s6                                // 000000005C0C: D1050007 20000D67
	v_exp_f32_e32 v4, v4                                       // 000000005C14: 7E084104
	v_exp_f32_e32 v5, v5                                       // 000000005C18: 7E0A4105
	v_exp_f32_e32 v6, v6                                       // 000000005C1C: 7E0C4106
	v_exp_f32_e32 v7, v7                                       // 000000005C20: 7E0E4107
	v_add_f32_e64 v4, v4, 1.0                                  // 000000005C24: D1010004 0001E504
	v_add_f32_e64 v5, v5, 1.0                                  // 000000005C2C: D1010005 0001E505
	v_add_f32_e64 v6, v6, 1.0                                  // 000000005C34: D1010006 0001E506
	v_add_f32_e64 v7, v7, 1.0                                  // 000000005C3C: D1010007 0001E507
	v_rcp_f32_e32 v4, v4                                       // 000000005C44: 7E084504
	v_rcp_f32_e32 v5, v5                                       // 000000005C48: 7E0A4505
	v_rcp_f32_e32 v6, v6                                       // 000000005C4C: 7E0C4506
	v_rcp_f32_e32 v7, v7                                       // 000000005C50: 7E0E4507
	v_mul_f32_e32 v100, v100, v4                               // 000000005C54: 0AC80964
	v_mul_f32_e32 v101, v101, v5                               // 000000005C58: 0ACA0B65
	v_mul_f32_e32 v102, v102, v6                               // 000000005C5C: 0ACC0D66
	v_mul_f32_e32 v103, v103, v7                               // 000000005C60: 0ACE0F67
	v_mul_f32_e32 v100, v100, v140                             // 000000005C64: 0AC91964
	v_mul_f32_e32 v101, v101, v141                             // 000000005C68: 0ACB1B65
	v_mul_f32_e32 v102, v102, v142                             // 000000005C6C: 0ACD1D66
	v_mul_f32_e32 v103, v103, v143                             // 000000005C70: 0ACF1F67

0000000000005c74 <label_0C9D>:
	v_cmp_u_f32_e64 s[46:47], v64, v64                         // 000000005C74: D048002E 00028140
	v_add3_u32 v16, v64, v19, 1                                // 000000005C7C: D1FF0010 02062740
	v_cndmask_b32_e64 v4, v16, v18, s[46:47]                   // 000000005C84: D1000004 00BA2510
	v_cmp_u_f32_e64 s[46:47], v65, v65                         // 000000005C8C: D048002E 00028341
	v_add3_u32 v16, v65, v19, 1                                // 000000005C94: D1FF0010 02062741
	v_cndmask_b32_e64 v5, v16, v18, s[46:47]                   // 000000005C9C: D1000005 00BA2510
	v_perm_b32 v64, v5, v4, s52                                // 000000005CA4: D1ED0040 00D20905
	v_cmp_u_f32_e64 s[46:47], v66, v66                         // 000000005CAC: D048002E 00028542
	v_add3_u32 v16, v66, v19, 1                                // 000000005CB4: D1FF0010 02062742
	v_cndmask_b32_e64 v4, v16, v18, s[46:47]                   // 000000005CBC: D1000004 00BA2510
	v_cmp_u_f32_e64 s[46:47], v67, v67                         // 000000005CC4: D048002E 00028743
	v_add3_u32 v16, v67, v19, 1                                // 000000005CCC: D1FF0010 02062743
	v_cndmask_b32_e64 v5, v16, v18, s[46:47]                   // 000000005CD4: D1000005 00BA2510
	v_perm_b32 v65, v5, v4, s52                                // 000000005CDC: D1ED0041 00D20905
	v_cmp_u_f32_e64 s[46:47], v68, v68                         // 000000005CE4: D048002E 00028944
	v_add3_u32 v16, v68, v19, 1                                // 000000005CEC: D1FF0010 02062744
	v_cndmask_b32_e64 v4, v16, v18, s[46:47]                   // 000000005CF4: D1000004 00BA2510
	v_cmp_u_f32_e64 s[46:47], v69, v69                         // 000000005CFC: D048002E 00028B45
	v_add3_u32 v16, v69, v19, 1                                // 000000005D04: D1FF0010 02062745
	v_cndmask_b32_e64 v5, v16, v18, s[46:47]                   // 000000005D0C: D1000005 00BA2510
	v_perm_b32 v66, v5, v4, s52                                // 000000005D14: D1ED0042 00D20905
	v_cmp_u_f32_e64 s[46:47], v70, v70                         // 000000005D1C: D048002E 00028D46
	v_add3_u32 v16, v70, v19, 1                                // 000000005D24: D1FF0010 02062746
	v_cndmask_b32_e64 v4, v16, v18, s[46:47]                   // 000000005D2C: D1000004 00BA2510
	v_cmp_u_f32_e64 s[46:47], v71, v71                         // 000000005D34: D048002E 00028F47
	v_add3_u32 v16, v71, v19, 1                                // 000000005D3C: D1FF0010 02062747
	v_cndmask_b32_e64 v5, v16, v18, s[46:47]                   // 000000005D44: D1000005 00BA2510
	v_perm_b32 v67, v5, v4, s52                                // 000000005D4C: D1ED0043 00D20905
	v_cmp_u_f32_e64 s[46:47], v72, v72                         // 000000005D54: D048002E 00029148
	v_add3_u32 v16, v72, v19, 1                                // 000000005D5C: D1FF0010 02062748
	v_cndmask_b32_e64 v4, v16, v18, s[46:47]                   // 000000005D64: D1000004 00BA2510
	v_cmp_u_f32_e64 s[46:47], v73, v73                         // 000000005D6C: D048002E 00029349
	v_add3_u32 v16, v73, v19, 1                                // 000000005D74: D1FF0010 02062749
	v_cndmask_b32_e64 v5, v16, v18, s[46:47]                   // 000000005D7C: D1000005 00BA2510
	v_perm_b32 v68, v5, v4, s52                                // 000000005D84: D1ED0044 00D20905
	v_cmp_u_f32_e64 s[46:47], v74, v74                         // 000000005D8C: D048002E 0002954A
	v_add3_u32 v16, v74, v19, 1                                // 000000005D94: D1FF0010 0206274A
	v_cndmask_b32_e64 v4, v16, v18, s[46:47]                   // 000000005D9C: D1000004 00BA2510
	v_cmp_u_f32_e64 s[46:47], v75, v75                         // 000000005DA4: D048002E 0002974B
	v_add3_u32 v16, v75, v19, 1                                // 000000005DAC: D1FF0010 0206274B
	v_cndmask_b32_e64 v5, v16, v18, s[46:47]                   // 000000005DB4: D1000005 00BA2510
	v_perm_b32 v69, v5, v4, s52                                // 000000005DBC: D1ED0045 00D20905
	v_cmp_u_f32_e64 s[46:47], v76, v76                         // 000000005DC4: D048002E 0002994C
	v_add3_u32 v16, v76, v19, 1                                // 000000005DCC: D1FF0010 0206274C
	v_cndmask_b32_e64 v4, v16, v18, s[46:47]                   // 000000005DD4: D1000004 00BA2510
	v_cmp_u_f32_e64 s[46:47], v77, v77                         // 000000005DDC: D048002E 00029B4D
	v_add3_u32 v16, v77, v19, 1                                // 000000005DE4: D1FF0010 0206274D
	v_cndmask_b32_e64 v5, v16, v18, s[46:47]                   // 000000005DEC: D1000005 00BA2510
	v_perm_b32 v70, v5, v4, s52                                // 000000005DF4: D1ED0046 00D20905
	v_cmp_u_f32_e64 s[46:47], v78, v78                         // 000000005DFC: D048002E 00029D4E
	v_add3_u32 v16, v78, v19, 1                                // 000000005E04: D1FF0010 0206274E
	v_cndmask_b32_e64 v4, v16, v18, s[46:47]                   // 000000005E0C: D1000004 00BA2510
	v_cmp_u_f32_e64 s[46:47], v79, v79                         // 000000005E14: D048002E 00029F4F
	v_add3_u32 v16, v79, v19, 1                                // 000000005E1C: D1FF0010 0206274F
	v_cndmask_b32_e64 v5, v16, v18, s[46:47]                   // 000000005E24: D1000005 00BA2510
	v_perm_b32 v71, v5, v4, s52                                // 000000005E2C: D1ED0047 00D20905
	v_cmp_u_f32_e64 s[46:47], v80, v80                         // 000000005E34: D048002E 0002A150
	v_add3_u32 v16, v80, v19, 1                                // 000000005E3C: D1FF0010 02062750
	v_cndmask_b32_e64 v4, v16, v18, s[46:47]                   // 000000005E44: D1000004 00BA2510
	v_cmp_u_f32_e64 s[46:47], v81, v81                         // 000000005E4C: D048002E 0002A351
	v_add3_u32 v16, v81, v19, 1                                // 000000005E54: D1FF0010 02062751
	v_cndmask_b32_e64 v5, v16, v18, s[46:47]                   // 000000005E5C: D1000005 00BA2510
	v_perm_b32 v72, v5, v4, s52                                // 000000005E64: D1ED0048 00D20905
	v_cmp_u_f32_e64 s[46:47], v82, v82                         // 000000005E6C: D048002E 0002A552
	v_add3_u32 v16, v82, v19, 1                                // 000000005E74: D1FF0010 02062752
	v_cndmask_b32_e64 v4, v16, v18, s[46:47]                   // 000000005E7C: D1000004 00BA2510
	v_cmp_u_f32_e64 s[46:47], v83, v83                         // 000000005E84: D048002E 0002A753
	v_add3_u32 v16, v83, v19, 1                                // 000000005E8C: D1FF0010 02062753
	v_cndmask_b32_e64 v5, v16, v18, s[46:47]                   // 000000005E94: D1000005 00BA2510
	v_perm_b32 v73, v5, v4, s52                                // 000000005E9C: D1ED0049 00D20905
	v_cmp_u_f32_e64 s[46:47], v84, v84                         // 000000005EA4: D048002E 0002A954
	v_add3_u32 v16, v84, v19, 1                                // 000000005EAC: D1FF0010 02062754
	v_cndmask_b32_e64 v4, v16, v18, s[46:47]                   // 000000005EB4: D1000004 00BA2510
	v_cmp_u_f32_e64 s[46:47], v85, v85                         // 000000005EBC: D048002E 0002AB55
	v_add3_u32 v16, v85, v19, 1                                // 000000005EC4: D1FF0010 02062755
	v_cndmask_b32_e64 v5, v16, v18, s[46:47]                   // 000000005ECC: D1000005 00BA2510
	v_perm_b32 v74, v5, v4, s52                                // 000000005ED4: D1ED004A 00D20905
	v_cmp_u_f32_e64 s[46:47], v86, v86                         // 000000005EDC: D048002E 0002AD56
	v_add3_u32 v16, v86, v19, 1                                // 000000005EE4: D1FF0010 02062756
	v_cndmask_b32_e64 v4, v16, v18, s[46:47]                   // 000000005EEC: D1000004 00BA2510
	v_cmp_u_f32_e64 s[46:47], v87, v87                         // 000000005EF4: D048002E 0002AF57
	v_add3_u32 v16, v87, v19, 1                                // 000000005EFC: D1FF0010 02062757
	v_cndmask_b32_e64 v5, v16, v18, s[46:47]                   // 000000005F04: D1000005 00BA2510
	v_perm_b32 v75, v5, v4, s52                                // 000000005F0C: D1ED004B 00D20905
	v_cmp_u_f32_e64 s[46:47], v88, v88                         // 000000005F14: D048002E 0002B158
	v_add3_u32 v16, v88, v19, 1                                // 000000005F1C: D1FF0010 02062758
	v_cndmask_b32_e64 v4, v16, v18, s[46:47]                   // 000000005F24: D1000004 00BA2510
	v_cmp_u_f32_e64 s[46:47], v89, v89                         // 000000005F2C: D048002E 0002B359
	v_add3_u32 v16, v89, v19, 1                                // 000000005F34: D1FF0010 02062759
	v_cndmask_b32_e64 v5, v16, v18, s[46:47]                   // 000000005F3C: D1000005 00BA2510
	v_perm_b32 v76, v5, v4, s52                                // 000000005F44: D1ED004C 00D20905
	v_cmp_u_f32_e64 s[46:47], v90, v90                         // 000000005F4C: D048002E 0002B55A
	v_add3_u32 v16, v90, v19, 1                                // 000000005F54: D1FF0010 0206275A
	v_cndmask_b32_e64 v4, v16, v18, s[46:47]                   // 000000005F5C: D1000004 00BA2510
	v_cmp_u_f32_e64 s[46:47], v91, v91                         // 000000005F64: D048002E 0002B75B
	v_add3_u32 v16, v91, v19, 1                                // 000000005F6C: D1FF0010 0206275B
	v_cndmask_b32_e64 v5, v16, v18, s[46:47]                   // 000000005F74: D1000005 00BA2510
	v_perm_b32 v77, v5, v4, s52                                // 000000005F7C: D1ED004D 00D20905
	v_cmp_u_f32_e64 s[46:47], v92, v92                         // 000000005F84: D048002E 0002B95C
	v_add3_u32 v16, v92, v19, 1                                // 000000005F8C: D1FF0010 0206275C
	v_cndmask_b32_e64 v4, v16, v18, s[46:47]                   // 000000005F94: D1000004 00BA2510
	v_cmp_u_f32_e64 s[46:47], v93, v93                         // 000000005F9C: D048002E 0002BB5D
	v_add3_u32 v16, v93, v19, 1                                // 000000005FA4: D1FF0010 0206275D
	v_cndmask_b32_e64 v5, v16, v18, s[46:47]                   // 000000005FAC: D1000005 00BA2510
	v_perm_b32 v78, v5, v4, s52                                // 000000005FB4: D1ED004E 00D20905
	v_cmp_u_f32_e64 s[46:47], v94, v94                         // 000000005FBC: D048002E 0002BD5E
	v_add3_u32 v16, v94, v19, 1                                // 000000005FC4: D1FF0010 0206275E
	v_cndmask_b32_e64 v4, v16, v18, s[46:47]                   // 000000005FCC: D1000004 00BA2510
	v_cmp_u_f32_e64 s[46:47], v95, v95                         // 000000005FD4: D048002E 0002BF5F
	v_add3_u32 v16, v95, v19, 1                                // 000000005FDC: D1FF0010 0206275F
	v_cndmask_b32_e64 v5, v16, v18, s[46:47]                   // 000000005FE4: D1000005 00BA2510
	v_perm_b32 v79, v5, v4, s52                                // 000000005FEC: D1ED004F 00D20905
	v_cmp_u_f32_e64 s[46:47], v96, v96                         // 000000005FF4: D048002E 0002C160
	v_add3_u32 v16, v96, v19, 1                                // 000000005FFC: D1FF0010 02062760
	v_cndmask_b32_e64 v4, v16, v18, s[46:47]                   // 000000006004: D1000004 00BA2510
	v_cmp_u_f32_e64 s[46:47], v97, v97                         // 00000000600C: D048002E 0002C361
	v_add3_u32 v16, v97, v19, 1                                // 000000006014: D1FF0010 02062761
	v_cndmask_b32_e64 v5, v16, v18, s[46:47]                   // 00000000601C: D1000005 00BA2510
	v_perm_b32 v80, v5, v4, s52                                // 000000006024: D1ED0050 00D20905
	v_cmp_u_f32_e64 s[46:47], v98, v98                         // 00000000602C: D048002E 0002C562
	v_add3_u32 v16, v98, v19, 1                                // 000000006034: D1FF0010 02062762
	v_cndmask_b32_e64 v4, v16, v18, s[46:47]                   // 00000000603C: D1000004 00BA2510
	v_cmp_u_f32_e64 s[46:47], v99, v99                         // 000000006044: D048002E 0002C763
	v_add3_u32 v16, v99, v19, 1                                // 00000000604C: D1FF0010 02062763
	v_cndmask_b32_e64 v5, v16, v18, s[46:47]                   // 000000006054: D1000005 00BA2510
	v_perm_b32 v81, v5, v4, s52                                // 00000000605C: D1ED0051 00D20905
	v_cmp_u_f32_e64 s[46:47], v100, v100                       // 000000006064: D048002E 0002C964
	v_add3_u32 v16, v100, v19, 1                               // 00000000606C: D1FF0010 02062764
	v_cndmask_b32_e64 v4, v16, v18, s[46:47]                   // 000000006074: D1000004 00BA2510
	v_cmp_u_f32_e64 s[46:47], v101, v101                       // 00000000607C: D048002E 0002CB65
	v_add3_u32 v16, v101, v19, 1                               // 000000006084: D1FF0010 02062765
	v_cndmask_b32_e64 v5, v16, v18, s[46:47]                   // 00000000608C: D1000005 00BA2510
	v_perm_b32 v82, v5, v4, s52                                // 000000006094: D1ED0052 00D20905
	v_cmp_u_f32_e64 s[46:47], v102, v102                       // 00000000609C: D048002E 0002CD66
	v_add3_u32 v16, v102, v19, 1                               // 0000000060A4: D1FF0010 02062766
	v_cndmask_b32_e64 v4, v16, v18, s[46:47]                   // 0000000060AC: D1000004 00BA2510
	v_cmp_u_f32_e64 s[46:47], v103, v103                       // 0000000060B4: D048002E 0002CF67
	v_add3_u32 v16, v103, v19, 1                               // 0000000060BC: D1FF0010 02062767
	v_cndmask_b32_e64 v5, v16, v18, s[46:47]                   // 0000000060C4: D1000005 00BA2510
	v_perm_b32 v83, v5, v4, s52                                // 0000000060CC: D1ED0053 00D20905
	ds_write_b64 v20, v[64:65]                                 // 0000000060D4: D89A0000 00004014
	ds_write_b64 v20, v[66:67] offset:4352                     // 0000000060DC: D89A1100 00004214
	ds_write_b64 v20, v[68:69] offset:8704                     // 0000000060E4: D89A2200 00004414
	ds_write_b64 v20, v[70:71] offset:13056                    // 0000000060EC: D89A3300 00004614
	ds_write_b64 v20, v[72:73] offset:17408                    // 0000000060F4: D89A4400 00004814
	ds_write_b64 v20, v[74:75] offset:2176                     // 0000000060FC: D89A0880 00004A14
	ds_write_b64 v20, v[76:77] offset:6528                     // 000000006104: D89A1980 00004C14
	ds_write_b64 v20, v[78:79] offset:10880                    // 00000000610C: D89A2A80 00004E14
	ds_write_b64 v20, v[80:81] offset:15232                    // 000000006114: D89A3B80 00005014
	ds_write_b64 v20, v[82:83] offset:19584                    // 00000000611C: D89A4C80 00005214
	v_lshrrev_b32_e32 v4, 5, v0                                // 000000006124: 20080085
	v_xor_b32_e32 v5, 1, v4                                    // 000000006128: 2A0A0881
	s_mul_i32 s60, s65, 2                                      // 00000000612C: 923C8241
	s_cmp_eq_u32 s88, 0                                        // 000000006130: BF068058
	s_cselect_b32 s61, 1, 4                                    // 000000006134: 853D8481
	s_mul_i32 s60, s61, s60                                    // 000000006138: 923C3C3D
	v_readlane_b32 s82, v3, 0                                  // 00000000613C: D2890052 00010103
	s_lshr_b32 s61, s82, 24                                    // 000000006144: 8F3D9852
	s_and_b32 s82, s82, 0xffffff                               // 000000006148: 8652FF52 00FFFFFF
	s_mul_i32 s82, s82, s71                                    // 000000006150: 92524752
	s_mul_i32 s61, s60, s61                                    // 000000006154: 923D3D3C
	s_add_u32 s82, s82, s61                                    // 000000006158: 80523D52
	v_mul_lo_u32 v6, v5, s82                                   // 00000000615C: D2850006 0000A505
	v_readlane_b32 s82, v3, 1                                  // 000000006164: D2890052 00010303
	s_lshr_b32 s61, s82, 24                                    // 00000000616C: 8F3D9852
	s_and_b32 s82, s82, 0xffffff                               // 000000006170: 8652FF52 00FFFFFF
	s_mul_i32 s82, s82, s71                                    // 000000006178: 92524752
	s_mul_i32 s61, s60, s61                                    // 00000000617C: 923D3D3C
	s_add_u32 s82, s82, s61                                    // 000000006180: 80523D52
	v_mul_lo_u32 v7, v4, s82                                   // 000000006184: D2850007 0000A504
	v_add_u32_e32 v50, v6, v7                                  // 00000000618C: 68640F06
	v_readlane_b32 s82, v3, 2                                  // 000000006190: D2890052 00010503
	s_lshr_b32 s61, s82, 24                                    // 000000006198: 8F3D9852
	s_and_b32 s82, s82, 0xffffff                               // 00000000619C: 8652FF52 00FFFFFF
	s_mul_i32 s82, s82, s71                                    // 0000000061A4: 92524752
	s_mul_i32 s61, s60, s61                                    // 0000000061A8: 923D3D3C
	s_add_u32 s82, s82, s61                                    // 0000000061AC: 80523D52
	v_mul_lo_u32 v6, v5, s82                                   // 0000000061B0: D2850006 0000A505
	v_readlane_b32 s82, v3, 3                                  // 0000000061B8: D2890052 00010703
	s_lshr_b32 s61, s82, 24                                    // 0000000061C0: 8F3D9852
	s_and_b32 s82, s82, 0xffffff                               // 0000000061C4: 8652FF52 00FFFFFF
	s_mul_i32 s82, s82, s71                                    // 0000000061CC: 92524752
	s_mul_i32 s61, s60, s61                                    // 0000000061D0: 923D3D3C
	s_add_u32 s82, s82, s61                                    // 0000000061D4: 80523D52
	v_mul_lo_u32 v7, v4, s82                                   // 0000000061D8: D2850007 0000A504
	v_add_u32_e32 v51, v6, v7                                  // 0000000061E0: 68660F06
	v_readlane_b32 s82, v3, 4                                  // 0000000061E4: D2890052 00010903
	s_lshr_b32 s61, s82, 24                                    // 0000000061EC: 8F3D9852
	s_and_b32 s82, s82, 0xffffff                               // 0000000061F0: 8652FF52 00FFFFFF
	s_mul_i32 s82, s82, s71                                    // 0000000061F8: 92524752
	s_mul_i32 s61, s60, s61                                    // 0000000061FC: 923D3D3C
	s_add_u32 s82, s82, s61                                    // 000000006200: 80523D52
	v_mul_lo_u32 v6, v5, s82                                   // 000000006204: D2850006 0000A505
	v_readlane_b32 s82, v3, 5                                  // 00000000620C: D2890052 00010B03
	s_lshr_b32 s61, s82, 24                                    // 000000006214: 8F3D9852
	s_and_b32 s82, s82, 0xffffff                               // 000000006218: 8652FF52 00FFFFFF
	s_mul_i32 s82, s82, s71                                    // 000000006220: 92524752
	s_mul_i32 s61, s60, s61                                    // 000000006224: 923D3D3C
	s_add_u32 s82, s82, s61                                    // 000000006228: 80523D52
	v_mul_lo_u32 v7, v4, s82                                   // 00000000622C: D2850007 0000A504
	v_add_u32_e32 v52, v6, v7                                  // 000000006234: 68680F06
	v_readlane_b32 s82, v3, 6                                  // 000000006238: D2890052 00010D03
	s_lshr_b32 s61, s82, 24                                    // 000000006240: 8F3D9852
	s_and_b32 s82, s82, 0xffffff                               // 000000006244: 8652FF52 00FFFFFF
	s_mul_i32 s82, s82, s71                                    // 00000000624C: 92524752
	s_mul_i32 s61, s60, s61                                    // 000000006250: 923D3D3C
	s_add_u32 s82, s82, s61                                    // 000000006254: 80523D52
	v_mul_lo_u32 v6, v5, s82                                   // 000000006258: D2850006 0000A505
	v_readlane_b32 s82, v3, 7                                  // 000000006260: D2890052 00010F03
	s_lshr_b32 s61, s82, 24                                    // 000000006268: 8F3D9852
	s_and_b32 s82, s82, 0xffffff                               // 00000000626C: 8652FF52 00FFFFFF
	s_mul_i32 s82, s82, s71                                    // 000000006274: 92524752
	s_mul_i32 s61, s60, s61                                    // 000000006278: 923D3D3C
	s_add_u32 s82, s82, s61                                    // 00000000627C: 80523D52
	v_mul_lo_u32 v7, v4, s82                                   // 000000006280: D2850007 0000A504
	v_add_u32_e32 v53, v6, v7                                  // 000000006288: 686A0F06
	v_readlane_b32 s82, v3, 8                                  // 00000000628C: D2890052 00011103
	s_lshr_b32 s61, s82, 24                                    // 000000006294: 8F3D9852
	s_and_b32 s82, s82, 0xffffff                               // 000000006298: 8652FF52 00FFFFFF
	s_mul_i32 s82, s82, s71                                    // 0000000062A0: 92524752
	s_mul_i32 s61, s60, s61                                    // 0000000062A4: 923D3D3C
	s_add_u32 s82, s82, s61                                    // 0000000062A8: 80523D52
	v_mul_lo_u32 v6, v5, s82                                   // 0000000062AC: D2850006 0000A505
	v_readlane_b32 s82, v3, 9                                  // 0000000062B4: D2890052 00011303
	s_lshr_b32 s61, s82, 24                                    // 0000000062BC: 8F3D9852
	s_and_b32 s82, s82, 0xffffff                               // 0000000062C0: 8652FF52 00FFFFFF
	s_mul_i32 s82, s82, s71                                    // 0000000062C8: 92524752
	s_mul_i32 s61, s60, s61                                    // 0000000062CC: 923D3D3C
	s_add_u32 s82, s82, s61                                    // 0000000062D0: 80523D52
	v_mul_lo_u32 v7, v4, s82                                   // 0000000062D4: D2850007 0000A504
	v_add_u32_e32 v54, v6, v7                                  // 0000000062DC: 686C0F06
	v_readlane_b32 s82, v3, 10                                 // 0000000062E0: D2890052 00011503
	s_lshr_b32 s61, s82, 24                                    // 0000000062E8: 8F3D9852
	s_and_b32 s82, s82, 0xffffff                               // 0000000062EC: 8652FF52 00FFFFFF
	s_mul_i32 s82, s82, s71                                    // 0000000062F4: 92524752
	s_mul_i32 s61, s60, s61                                    // 0000000062F8: 923D3D3C
	s_add_u32 s82, s82, s61                                    // 0000000062FC: 80523D52
	v_mul_lo_u32 v6, v5, s82                                   // 000000006300: D2850006 0000A505
	v_readlane_b32 s82, v3, 11                                 // 000000006308: D2890052 00011703
	s_lshr_b32 s61, s82, 24                                    // 000000006310: 8F3D9852
	s_and_b32 s82, s82, 0xffffff                               // 000000006314: 8652FF52 00FFFFFF
	s_mul_i32 s82, s82, s71                                    // 00000000631C: 92524752
	s_mul_i32 s61, s60, s61                                    // 000000006320: 923D3D3C
	s_add_u32 s82, s82, s61                                    // 000000006324: 80523D52
	v_mul_lo_u32 v7, v4, s82                                   // 000000006328: D2850007 0000A504
	v_add_u32_e32 v55, v6, v7                                  // 000000006330: 686E0F06
	v_readlane_b32 s82, v3, 12                                 // 000000006334: D2890052 00011903
	s_lshr_b32 s61, s82, 24                                    // 00000000633C: 8F3D9852
	s_and_b32 s82, s82, 0xffffff                               // 000000006340: 8652FF52 00FFFFFF
	s_mul_i32 s82, s82, s71                                    // 000000006348: 92524752
	s_mul_i32 s61, s60, s61                                    // 00000000634C: 923D3D3C
	s_add_u32 s82, s82, s61                                    // 000000006350: 80523D52
	v_mul_lo_u32 v6, v5, s82                                   // 000000006354: D2850006 0000A505
	v_readlane_b32 s82, v3, 13                                 // 00000000635C: D2890052 00011B03
	s_lshr_b32 s61, s82, 24                                    // 000000006364: 8F3D9852
	s_and_b32 s82, s82, 0xffffff                               // 000000006368: 8652FF52 00FFFFFF
	s_mul_i32 s82, s82, s71                                    // 000000006370: 92524752
	s_mul_i32 s61, s60, s61                                    // 000000006374: 923D3D3C
	s_add_u32 s82, s82, s61                                    // 000000006378: 80523D52
	v_mul_lo_u32 v7, v4, s82                                   // 00000000637C: D2850007 0000A504
	v_add_u32_e32 v56, v6, v7                                  // 000000006384: 68700F06
	v_readlane_b32 s82, v3, 14                                 // 000000006388: D2890052 00011D03
	s_lshr_b32 s61, s82, 24                                    // 000000006390: 8F3D9852
	s_and_b32 s82, s82, 0xffffff                               // 000000006394: 8652FF52 00FFFFFF
	s_mul_i32 s82, s82, s71                                    // 00000000639C: 92524752
	s_mul_i32 s61, s60, s61                                    // 0000000063A0: 923D3D3C
	s_add_u32 s82, s82, s61                                    // 0000000063A4: 80523D52
	v_mul_lo_u32 v6, v5, s82                                   // 0000000063A8: D2850006 0000A505
	v_readlane_b32 s82, v3, 15                                 // 0000000063B0: D2890052 00011F03
	s_lshr_b32 s61, s82, 24                                    // 0000000063B8: 8F3D9852
	s_and_b32 s82, s82, 0xffffff                               // 0000000063BC: 8652FF52 00FFFFFF
	s_mul_i32 s82, s82, s71                                    // 0000000063C4: 92524752
	s_mul_i32 s61, s60, s61                                    // 0000000063C8: 923D3D3C
	s_add_u32 s82, s82, s61                                    // 0000000063CC: 80523D52
	v_mul_lo_u32 v7, v4, s82                                   // 0000000063D0: D2850007 0000A504
	v_add_u32_e32 v57, v6, v7                                  // 0000000063D8: 68720F06
	v_readlane_b32 s82, v3, 16                                 // 0000000063DC: D2890052 00012103
	s_lshr_b32 s61, s82, 24                                    // 0000000063E4: 8F3D9852
	s_and_b32 s82, s82, 0xffffff                               // 0000000063E8: 8652FF52 00FFFFFF
	s_mul_i32 s82, s82, s71                                    // 0000000063F0: 92524752
	s_mul_i32 s61, s60, s61                                    // 0000000063F4: 923D3D3C
	s_add_u32 s82, s82, s61                                    // 0000000063F8: 80523D52
	v_mul_lo_u32 v6, v5, s82                                   // 0000000063FC: D2850006 0000A505
	v_readlane_b32 s82, v3, 17                                 // 000000006404: D2890052 00012303
	s_lshr_b32 s61, s82, 24                                    // 00000000640C: 8F3D9852
	s_and_b32 s82, s82, 0xffffff                               // 000000006410: 8652FF52 00FFFFFF
	s_mul_i32 s82, s82, s71                                    // 000000006418: 92524752
	s_mul_i32 s61, s60, s61                                    // 00000000641C: 923D3D3C
	s_add_u32 s82, s82, s61                                    // 000000006420: 80523D52
	v_mul_lo_u32 v7, v4, s82                                   // 000000006424: D2850007 0000A504
	v_add_u32_e32 v58, v6, v7                                  // 00000000642C: 68740F06
	v_readlane_b32 s82, v3, 18                                 // 000000006430: D2890052 00012503
	s_lshr_b32 s61, s82, 24                                    // 000000006438: 8F3D9852
	s_and_b32 s82, s82, 0xffffff                               // 00000000643C: 8652FF52 00FFFFFF
	s_mul_i32 s82, s82, s71                                    // 000000006444: 92524752
	s_mul_i32 s61, s60, s61                                    // 000000006448: 923D3D3C
	s_add_u32 s82, s82, s61                                    // 00000000644C: 80523D52
	v_mul_lo_u32 v6, v5, s82                                   // 000000006450: D2850006 0000A505
	v_readlane_b32 s82, v3, 19                                 // 000000006458: D2890052 00012703
	s_lshr_b32 s61, s82, 24                                    // 000000006460: 8F3D9852
	s_and_b32 s82, s82, 0xffffff                               // 000000006464: 8652FF52 00FFFFFF
	s_mul_i32 s82, s82, s71                                    // 00000000646C: 92524752
	s_mul_i32 s61, s60, s61                                    // 000000006470: 923D3D3C
	s_add_u32 s82, s82, s61                                    // 000000006474: 80523D52
	v_mul_lo_u32 v7, v4, s82                                   // 000000006478: D2850007 0000A504
	v_add_u32_e32 v59, v6, v7                                  // 000000006480: 68760F06
	v_and_b32_e32 v4, 31, v0                                   // 000000006484: 2608009F
	v_lshrrev_b32_e32 v4, 1, v4                                // 000000006488: 20080881
	s_cmp_eq_u32 s88, 0                                        // 00000000648C: BF068058
	s_cselect_b32 s61, 2, 4                                    // 000000006490: 853D8482
	v_mul_lo_u32 v4, v4, s61                                   // 000000006494: D2850004 00007B04
	v_and_b32_e64 v5, v0, 1                                    // 00000000649C: D1130005 00010300
	v_add_u32_e32 v4, v4, v5                                   // 0000000064A4: 68080B04
	v_lshlrev_b32_e32 v4, 2, v4                                // 0000000064A8: 24080882
	v_add_u32_e32 v50, v50, v4                                 // 0000000064AC: 68640932
	v_add_u32_e32 v51, v51, v4                                 // 0000000064B0: 68660933
	v_add_u32_e32 v52, v52, v4                                 // 0000000064B4: 68680934
	v_add_u32_e32 v53, v53, v4                                 // 0000000064B8: 686A0935
	v_add_u32_e32 v54, v54, v4                                 // 0000000064BC: 686C0936
	v_add_u32_e32 v55, v55, v4                                 // 0000000064C0: 686E0937
	v_add_u32_e32 v56, v56, v4                                 // 0000000064C4: 68700938
	v_add_u32_e32 v57, v57, v4                                 // 0000000064C8: 68720939
	v_add_u32_e32 v58, v58, v4                                 // 0000000064CC: 6874093A
	v_add_u32_e32 v59, v59, v4                                 // 0000000064D0: 6876093B
	s_waitcnt lgkmcnt(0)                                       // 0000000064D4: BF8CC07F
	s_barrier                                                  // 0000000064D8: BF8A0000
	ds_read_b32 v64, v21                                       // 0000000064DC: D86C0000 40000015
	ds_read_b32 v65, v21 offset:64                             // 0000000064E4: D86C0040 41000015
	ds_read_b32 v66, v21 offset:2176                           // 0000000064EC: D86C0880 42000015
	ds_read_b32 v67, v21 offset:2240                           // 0000000064F4: D86C08C0 43000015
	ds_read_b32 v68, v21 offset:4352                           // 0000000064FC: D86C1100 44000015
	ds_read_b32 v69, v21 offset:4416                           // 000000006504: D86C1140 45000015
	ds_read_b32 v70, v21 offset:6528                           // 00000000650C: D86C1980 46000015
	ds_read_b32 v71, v21 offset:6592                           // 000000006514: D86C19C0 47000015
	ds_read_b32 v72, v21 offset:8704                           // 00000000651C: D86C2200 48000015
	ds_read_b32 v73, v21 offset:8768                           // 000000006524: D86C2240 49000015
	ds_read_b32 v74, v21 offset:10880                          // 00000000652C: D86C2A80 4A000015
	ds_read_b32 v75, v21 offset:10944                          // 000000006534: D86C2AC0 4B000015
	ds_read_b32 v76, v21 offset:13056                          // 00000000653C: D86C3300 4C000015
	ds_read_b32 v77, v21 offset:13120                          // 000000006544: D86C3340 4D000015
	ds_read_b32 v78, v21 offset:15232                          // 00000000654C: D86C3B80 4E000015
	ds_read_b32 v79, v21 offset:15296                          // 000000006554: D86C3BC0 4F000015
	ds_read_b32 v80, v21 offset:17408                          // 00000000655C: D86C4400 50000015
	ds_read_b32 v81, v21 offset:17472                          // 000000006564: D86C4440 51000015
	ds_read_b32 v82, v21 offset:19584                          // 00000000656C: D86C4C80 52000015
	ds_read_b32 v83, v21 offset:19648                          // 000000006574: D86C4CC0 53000015
	s_waitcnt lgkmcnt(0)                                       // 00000000657C: BF8CC07F
	s_mov_b32 s36, -1                                          // 000000006580: BEA400C1
	s_mov_b32 s37, -1                                          // 000000006584: BEA500C1
	v_mov_b32_e32 v7, 0                                        // 000000006588: 7E0E0280
	s_or_b32 s9, s9, 0x40000                                   // 00000000658C: 8709FF09 00040000
	s_mov_b64 exec, s[36:37]                                   // 000000006594: BEFE0124
	v_mov_b32_e32 v6, v50                                      // 000000006598: 7E0C0332
	s_mov_b64 s[60:61], 0                                      // 00000000659C: BEBC0180
	v_readlane_b32 s82, v3, 0                                  // 0000000065A0: D2890052 00010103
	s_and_b32 s82, s82, 0xffffff                               // 0000000065A8: 8652FF52 00FFFFFF
	s_cmp_lt_u32 s82, s66                                      // 0000000065B0: BF0A4252
	s_cselect_b32 s20, s36, s60                                // 0000000065B4: 85143C24
	v_readlane_b32 s82, v3, 1                                  // 0000000065B8: D2890052 00010303
	s_and_b32 s82, s82, 0xffffff                               // 0000000065C0: 8652FF52 00FFFFFF
	s_cmp_lt_u32 s82, s66                                      // 0000000065C8: BF0A4252
	s_cselect_b32 s21, s36, s60                                // 0000000065CC: 85153C24
	s_mov_b64 exec, s[20:21]                                   // 0000000065D0: BEFE0114
	buffer_store_dword v64, v6, s[8:11], 0 offen               // 0000000065D4: E0701000 80024006
	buffer_store_dword v66, v6, s[8:11], 0 offen offset:128    // 0000000065DC: E0701080 80024206
	s_mov_b64 exec, s[36:37]                                   // 0000000065E4: BEFE0124
	v_mov_b32_e32 v6, v51                                      // 0000000065E8: 7E0C0333
	s_mov_b64 s[60:61], 0                                      // 0000000065EC: BEBC0180
	v_readlane_b32 s82, v3, 2                                  // 0000000065F0: D2890052 00010503
	s_and_b32 s82, s82, 0xffffff                               // 0000000065F8: 8652FF52 00FFFFFF
	s_cmp_lt_u32 s82, s66                                      // 000000006600: BF0A4252
	s_cselect_b32 s20, s36, s60                                // 000000006604: 85143C24
	v_readlane_b32 s82, v3, 3                                  // 000000006608: D2890052 00010703
	s_and_b32 s82, s82, 0xffffff                               // 000000006610: 8652FF52 00FFFFFF
	s_cmp_lt_u32 s82, s66                                      // 000000006618: BF0A4252
	s_cselect_b32 s21, s36, s60                                // 00000000661C: 85153C24
	s_mov_b64 exec, s[20:21]                                   // 000000006620: BEFE0114
	buffer_store_dword v65, v6, s[8:11], 0 offen               // 000000006624: E0701000 80024106
	buffer_store_dword v67, v6, s[8:11], 0 offen offset:128    // 00000000662C: E0701080 80024306
	s_mov_b64 exec, s[36:37]                                   // 000000006634: BEFE0124
	v_mov_b32_e32 v6, v52                                      // 000000006638: 7E0C0334
	s_mov_b64 s[60:61], 0                                      // 00000000663C: BEBC0180
	v_readlane_b32 s82, v3, 4                                  // 000000006640: D2890052 00010903
	s_and_b32 s82, s82, 0xffffff                               // 000000006648: 8652FF52 00FFFFFF
	s_cmp_lt_u32 s82, s66                                      // 000000006650: BF0A4252
	s_cselect_b32 s20, s36, s60                                // 000000006654: 85143C24
	v_readlane_b32 s82, v3, 5                                  // 000000006658: D2890052 00010B03
	s_and_b32 s82, s82, 0xffffff                               // 000000006660: 8652FF52 00FFFFFF
	s_cmp_lt_u32 s82, s66                                      // 000000006668: BF0A4252
	s_cselect_b32 s21, s36, s60                                // 00000000666C: 85153C24
	s_mov_b64 exec, s[20:21]                                   // 000000006670: BEFE0114
	buffer_store_dword v68, v6, s[8:11], 0 offen               // 000000006674: E0701000 80024406
	buffer_store_dword v70, v6, s[8:11], 0 offen offset:128    // 00000000667C: E0701080 80024606
	s_mov_b64 exec, s[36:37]                                   // 000000006684: BEFE0124
	v_mov_b32_e32 v6, v53                                      // 000000006688: 7E0C0335
	s_mov_b64 s[60:61], 0                                      // 00000000668C: BEBC0180
	v_readlane_b32 s82, v3, 6                                  // 000000006690: D2890052 00010D03
	s_and_b32 s82, s82, 0xffffff                               // 000000006698: 8652FF52 00FFFFFF
	s_cmp_lt_u32 s82, s66                                      // 0000000066A0: BF0A4252
	s_cselect_b32 s20, s36, s60                                // 0000000066A4: 85143C24
	v_readlane_b32 s82, v3, 7                                  // 0000000066A8: D2890052 00010F03
	s_and_b32 s82, s82, 0xffffff                               // 0000000066B0: 8652FF52 00FFFFFF
	s_cmp_lt_u32 s82, s66                                      // 0000000066B8: BF0A4252
	s_cselect_b32 s21, s36, s60                                // 0000000066BC: 85153C24
	s_mov_b64 exec, s[20:21]                                   // 0000000066C0: BEFE0114
	buffer_store_dword v69, v6, s[8:11], 0 offen               // 0000000066C4: E0701000 80024506
	buffer_store_dword v71, v6, s[8:11], 0 offen offset:128    // 0000000066CC: E0701080 80024706
	s_mov_b64 exec, s[36:37]                                   // 0000000066D4: BEFE0124
	v_mov_b32_e32 v6, v54                                      // 0000000066D8: 7E0C0336
	s_mov_b64 s[60:61], 0                                      // 0000000066DC: BEBC0180
	v_readlane_b32 s82, v3, 8                                  // 0000000066E0: D2890052 00011103
	s_and_b32 s82, s82, 0xffffff                               // 0000000066E8: 8652FF52 00FFFFFF
	s_cmp_lt_u32 s82, s66                                      // 0000000066F0: BF0A4252
	s_cselect_b32 s20, s36, s60                                // 0000000066F4: 85143C24
	v_readlane_b32 s82, v3, 9                                  // 0000000066F8: D2890052 00011303
	s_and_b32 s82, s82, 0xffffff                               // 000000006700: 8652FF52 00FFFFFF
	s_cmp_lt_u32 s82, s66                                      // 000000006708: BF0A4252
	s_cselect_b32 s21, s36, s60                                // 00000000670C: 85153C24
	s_mov_b64 exec, s[20:21]                                   // 000000006710: BEFE0114
	buffer_store_dword v72, v6, s[8:11], 0 offen               // 000000006714: E0701000 80024806
	buffer_store_dword v74, v6, s[8:11], 0 offen offset:128    // 00000000671C: E0701080 80024A06
	s_mov_b64 exec, s[36:37]                                   // 000000006724: BEFE0124
	v_mov_b32_e32 v6, v55                                      // 000000006728: 7E0C0337
	s_mov_b64 s[60:61], 0                                      // 00000000672C: BEBC0180
	v_readlane_b32 s82, v3, 10                                 // 000000006730: D2890052 00011503
	s_and_b32 s82, s82, 0xffffff                               // 000000006738: 8652FF52 00FFFFFF
	s_cmp_lt_u32 s82, s66                                      // 000000006740: BF0A4252
	s_cselect_b32 s20, s36, s60                                // 000000006744: 85143C24
	v_readlane_b32 s82, v3, 11                                 // 000000006748: D2890052 00011703
	s_and_b32 s82, s82, 0xffffff                               // 000000006750: 8652FF52 00FFFFFF
	s_cmp_lt_u32 s82, s66                                      // 000000006758: BF0A4252
	s_cselect_b32 s21, s36, s60                                // 00000000675C: 85153C24
	s_mov_b64 exec, s[20:21]                                   // 000000006760: BEFE0114
	buffer_store_dword v73, v6, s[8:11], 0 offen               // 000000006764: E0701000 80024906
	buffer_store_dword v75, v6, s[8:11], 0 offen offset:128    // 00000000676C: E0701080 80024B06
	s_mov_b64 exec, s[36:37]                                   // 000000006774: BEFE0124
	v_mov_b32_e32 v6, v56                                      // 000000006778: 7E0C0338
	s_mov_b64 s[60:61], 0                                      // 00000000677C: BEBC0180
	v_readlane_b32 s82, v3, 12                                 // 000000006780: D2890052 00011903
	s_and_b32 s82, s82, 0xffffff                               // 000000006788: 8652FF52 00FFFFFF
	s_cmp_lt_u32 s82, s66                                      // 000000006790: BF0A4252
	s_cselect_b32 s20, s36, s60                                // 000000006794: 85143C24
	v_readlane_b32 s82, v3, 13                                 // 000000006798: D2890052 00011B03
	s_and_b32 s82, s82, 0xffffff                               // 0000000067A0: 8652FF52 00FFFFFF
	s_cmp_lt_u32 s82, s66                                      // 0000000067A8: BF0A4252
	s_cselect_b32 s21, s36, s60                                // 0000000067AC: 85153C24
	s_mov_b64 exec, s[20:21]                                   // 0000000067B0: BEFE0114
	buffer_store_dword v76, v6, s[8:11], 0 offen               // 0000000067B4: E0701000 80024C06
	buffer_store_dword v78, v6, s[8:11], 0 offen offset:128    // 0000000067BC: E0701080 80024E06
	s_mov_b64 exec, s[36:37]                                   // 0000000067C4: BEFE0124
	v_mov_b32_e32 v6, v57                                      // 0000000067C8: 7E0C0339
	s_mov_b64 s[60:61], 0                                      // 0000000067CC: BEBC0180
	v_readlane_b32 s82, v3, 14                                 // 0000000067D0: D2890052 00011D03
	s_and_b32 s82, s82, 0xffffff                               // 0000000067D8: 8652FF52 00FFFFFF
	s_cmp_lt_u32 s82, s66                                      // 0000000067E0: BF0A4252
	s_cselect_b32 s20, s36, s60                                // 0000000067E4: 85143C24
	v_readlane_b32 s82, v3, 15                                 // 0000000067E8: D2890052 00011F03
	s_and_b32 s82, s82, 0xffffff                               // 0000000067F0: 8652FF52 00FFFFFF
	s_cmp_lt_u32 s82, s66                                      // 0000000067F8: BF0A4252
	s_cselect_b32 s21, s36, s60                                // 0000000067FC: 85153C24
	s_mov_b64 exec, s[20:21]                                   // 000000006800: BEFE0114
	buffer_store_dword v77, v6, s[8:11], 0 offen               // 000000006804: E0701000 80024D06
	buffer_store_dword v79, v6, s[8:11], 0 offen offset:128    // 00000000680C: E0701080 80024F06
	s_mov_b64 exec, s[36:37]                                   // 000000006814: BEFE0124
	v_mov_b32_e32 v6, v58                                      // 000000006818: 7E0C033A
	s_mov_b64 s[60:61], 0                                      // 00000000681C: BEBC0180
	v_readlane_b32 s82, v3, 16                                 // 000000006820: D2890052 00012103
	s_and_b32 s82, s82, 0xffffff                               // 000000006828: 8652FF52 00FFFFFF
	s_cmp_lt_u32 s82, s66                                      // 000000006830: BF0A4252
	s_cselect_b32 s20, s36, s60                                // 000000006834: 85143C24
	v_readlane_b32 s82, v3, 17                                 // 000000006838: D2890052 00012303
	s_and_b32 s82, s82, 0xffffff                               // 000000006840: 8652FF52 00FFFFFF
	s_cmp_lt_u32 s82, s66                                      // 000000006848: BF0A4252
	s_cselect_b32 s21, s36, s60                                // 00000000684C: 85153C24
	s_mov_b64 exec, s[20:21]                                   // 000000006850: BEFE0114
	buffer_store_dword v80, v6, s[8:11], 0 offen               // 000000006854: E0701000 80025006
	buffer_store_dword v82, v6, s[8:11], 0 offen offset:128    // 00000000685C: E0701080 80025206
	s_mov_b64 exec, s[36:37]                                   // 000000006864: BEFE0124
	v_mov_b32_e32 v6, v59                                      // 000000006868: 7E0C033B
	s_mov_b64 s[60:61], 0                                      // 00000000686C: BEBC0180
	v_readlane_b32 s82, v3, 18                                 // 000000006870: D2890052 00012503
	s_and_b32 s82, s82, 0xffffff                               // 000000006878: 8652FF52 00FFFFFF
	s_cmp_lt_u32 s82, s66                                      // 000000006880: BF0A4252
	s_cselect_b32 s20, s36, s60                                // 000000006884: 85143C24
	v_readlane_b32 s82, v3, 19                                 // 000000006888: D2890052 00012703
	s_and_b32 s82, s82, 0xffffff                               // 000000006890: 8652FF52 00FFFFFF
	s_cmp_lt_u32 s82, s66                                      // 000000006898: BF0A4252
	s_cselect_b32 s21, s36, s60                                // 00000000689C: 85153C24
	s_mov_b64 exec, s[20:21]                                   // 0000000068A0: BEFE0114
	buffer_store_dword v81, v6, s[8:11], 0 offen               // 0000000068A4: E0701000 80025106
	buffer_store_dword v83, v6, s[8:11], 0 offen offset:128    // 0000000068AC: E0701080 80025306
	s_mov_b64 exec, s[36:37]                                   // 0000000068B4: BEFE0124
	s_branch label_26D6                                        // 0000000068B8: BF821724

00000000000068bc <label_0FAF>:
	ds_write_b64 v20, v[64:65]                                 // 0000000068BC: D89A0000 00004014
	ds_write_b64 v20, v[68:69] offset:4352                     // 0000000068C4: D89A1100 00004414
	ds_write_b64 v20, v[72:73] offset:8704                     // 0000000068CC: D89A2200 00004814
	ds_write_b64 v20, v[76:77] offset:13056                    // 0000000068D4: D89A3300 00004C14
	ds_write_b64 v20, v[80:81] offset:17408                    // 0000000068DC: D89A4400 00005014
	ds_write_b64 v20, v[84:85] offset:2176                     // 0000000068E4: D89A0880 00005414
	ds_write_b64 v20, v[88:89] offset:6528                     // 0000000068EC: D89A1980 00005814
	ds_write_b64 v20, v[92:93] offset:10880                    // 0000000068F4: D89A2A80 00005C14
	ds_write_b64 v20, v[96:97] offset:15232                    // 0000000068FC: D89A3B80 00006014
	ds_write_b64 v20, v[100:101] offset:19584                  // 000000006904: D89A4C80 00006414
	v_lshrrev_b32_e32 v4, 5, v0                                // 00000000690C: 20080085
	v_xor_b32_e32 v5, 1, v4                                    // 000000006910: 2A0A0881
	s_mul_i32 s60, s65, 2                                      // 000000006914: 923C8241
	s_cmp_eq_u32 s88, 0                                        // 000000006918: BF068058
	s_cselect_b32 s61, 1, 4                                    // 00000000691C: 853D8481
	s_mul_i32 s60, s61, s60                                    // 000000006920: 923C3C3D
	v_readlane_b32 s82, v3, 0                                  // 000000006924: D2890052 00010103
	s_lshr_b32 s61, s82, 24                                    // 00000000692C: 8F3D9852
	s_and_b32 s82, s82, 0xffffff                               // 000000006930: 8652FF52 00FFFFFF
	s_mul_i32 s82, s82, s71                                    // 000000006938: 92524752
	s_mul_i32 s61, s60, s61                                    // 00000000693C: 923D3D3C
	s_add_u32 s82, s82, s61                                    // 000000006940: 80523D52
	v_mul_lo_u32 v6, v5, s82                                   // 000000006944: D2850006 0000A505
	v_readlane_b32 s82, v3, 1                                  // 00000000694C: D2890052 00010303
	s_lshr_b32 s61, s82, 24                                    // 000000006954: 8F3D9852
	s_and_b32 s82, s82, 0xffffff                               // 000000006958: 8652FF52 00FFFFFF
	s_mul_i32 s82, s82, s71                                    // 000000006960: 92524752
	s_mul_i32 s61, s60, s61                                    // 000000006964: 923D3D3C
	s_add_u32 s82, s82, s61                                    // 000000006968: 80523D52
	v_mul_lo_u32 v7, v4, s82                                   // 00000000696C: D2850007 0000A504
	v_add_u32_e32 v50, v6, v7                                  // 000000006974: 68640F06
	v_readlane_b32 s82, v3, 2                                  // 000000006978: D2890052 00010503
	s_lshr_b32 s61, s82, 24                                    // 000000006980: 8F3D9852
	s_and_b32 s82, s82, 0xffffff                               // 000000006984: 8652FF52 00FFFFFF
	s_mul_i32 s82, s82, s71                                    // 00000000698C: 92524752
	s_mul_i32 s61, s60, s61                                    // 000000006990: 923D3D3C
	s_add_u32 s82, s82, s61                                    // 000000006994: 80523D52
	v_mul_lo_u32 v6, v5, s82                                   // 000000006998: D2850006 0000A505
	v_readlane_b32 s82, v3, 3                                  // 0000000069A0: D2890052 00010703
	s_lshr_b32 s61, s82, 24                                    // 0000000069A8: 8F3D9852
	s_and_b32 s82, s82, 0xffffff                               // 0000000069AC: 8652FF52 00FFFFFF
	s_mul_i32 s82, s82, s71                                    // 0000000069B4: 92524752
	s_mul_i32 s61, s60, s61                                    // 0000000069B8: 923D3D3C
	s_add_u32 s82, s82, s61                                    // 0000000069BC: 80523D52
	v_mul_lo_u32 v7, v4, s82                                   // 0000000069C0: D2850007 0000A504
	v_add_u32_e32 v51, v6, v7                                  // 0000000069C8: 68660F06
	v_readlane_b32 s82, v3, 4                                  // 0000000069CC: D2890052 00010903
	s_lshr_b32 s61, s82, 24                                    // 0000000069D4: 8F3D9852
	s_and_b32 s82, s82, 0xffffff                               // 0000000069D8: 8652FF52 00FFFFFF
	s_mul_i32 s82, s82, s71                                    // 0000000069E0: 92524752
	s_mul_i32 s61, s60, s61                                    // 0000000069E4: 923D3D3C
	s_add_u32 s82, s82, s61                                    // 0000000069E8: 80523D52
	v_mul_lo_u32 v6, v5, s82                                   // 0000000069EC: D2850006 0000A505
	v_readlane_b32 s82, v3, 5                                  // 0000000069F4: D2890052 00010B03
	s_lshr_b32 s61, s82, 24                                    // 0000000069FC: 8F3D9852
	s_and_b32 s82, s82, 0xffffff                               // 000000006A00: 8652FF52 00FFFFFF
	s_mul_i32 s82, s82, s71                                    // 000000006A08: 92524752
	s_mul_i32 s61, s60, s61                                    // 000000006A0C: 923D3D3C
	s_add_u32 s82, s82, s61                                    // 000000006A10: 80523D52
	v_mul_lo_u32 v7, v4, s82                                   // 000000006A14: D2850007 0000A504
	v_add_u32_e32 v52, v6, v7                                  // 000000006A1C: 68680F06
	v_readlane_b32 s82, v3, 6                                  // 000000006A20: D2890052 00010D03
	s_lshr_b32 s61, s82, 24                                    // 000000006A28: 8F3D9852
	s_and_b32 s82, s82, 0xffffff                               // 000000006A2C: 8652FF52 00FFFFFF
	s_mul_i32 s82, s82, s71                                    // 000000006A34: 92524752
	s_mul_i32 s61, s60, s61                                    // 000000006A38: 923D3D3C
	s_add_u32 s82, s82, s61                                    // 000000006A3C: 80523D52
	v_mul_lo_u32 v6, v5, s82                                   // 000000006A40: D2850006 0000A505
	v_readlane_b32 s82, v3, 7                                  // 000000006A48: D2890052 00010F03
	s_lshr_b32 s61, s82, 24                                    // 000000006A50: 8F3D9852
	s_and_b32 s82, s82, 0xffffff                               // 000000006A54: 8652FF52 00FFFFFF
	s_mul_i32 s82, s82, s71                                    // 000000006A5C: 92524752
	s_mul_i32 s61, s60, s61                                    // 000000006A60: 923D3D3C
	s_add_u32 s82, s82, s61                                    // 000000006A64: 80523D52
	v_mul_lo_u32 v7, v4, s82                                   // 000000006A68: D2850007 0000A504
	v_add_u32_e32 v53, v6, v7                                  // 000000006A70: 686A0F06
	v_readlane_b32 s82, v3, 8                                  // 000000006A74: D2890052 00011103
	s_lshr_b32 s61, s82, 24                                    // 000000006A7C: 8F3D9852
	s_and_b32 s82, s82, 0xffffff                               // 000000006A80: 8652FF52 00FFFFFF
	s_mul_i32 s82, s82, s71                                    // 000000006A88: 92524752
	s_mul_i32 s61, s60, s61                                    // 000000006A8C: 923D3D3C
	s_add_u32 s82, s82, s61                                    // 000000006A90: 80523D52
	v_mul_lo_u32 v6, v5, s82                                   // 000000006A94: D2850006 0000A505
	v_readlane_b32 s82, v3, 9                                  // 000000006A9C: D2890052 00011303
	s_lshr_b32 s61, s82, 24                                    // 000000006AA4: 8F3D9852
	s_and_b32 s82, s82, 0xffffff                               // 000000006AA8: 8652FF52 00FFFFFF
	s_mul_i32 s82, s82, s71                                    // 000000006AB0: 92524752
	s_mul_i32 s61, s60, s61                                    // 000000006AB4: 923D3D3C
	s_add_u32 s82, s82, s61                                    // 000000006AB8: 80523D52
	v_mul_lo_u32 v7, v4, s82                                   // 000000006ABC: D2850007 0000A504
	v_add_u32_e32 v54, v6, v7                                  // 000000006AC4: 686C0F06
	v_readlane_b32 s82, v3, 10                                 // 000000006AC8: D2890052 00011503
	s_lshr_b32 s61, s82, 24                                    // 000000006AD0: 8F3D9852
	s_and_b32 s82, s82, 0xffffff                               // 000000006AD4: 8652FF52 00FFFFFF
	s_mul_i32 s82, s82, s71                                    // 000000006ADC: 92524752
	s_mul_i32 s61, s60, s61                                    // 000000006AE0: 923D3D3C
	s_add_u32 s82, s82, s61                                    // 000000006AE4: 80523D52
	v_mul_lo_u32 v6, v5, s82                                   // 000000006AE8: D2850006 0000A505
	v_readlane_b32 s82, v3, 11                                 // 000000006AF0: D2890052 00011703
	s_lshr_b32 s61, s82, 24                                    // 000000006AF8: 8F3D9852
	s_and_b32 s82, s82, 0xffffff                               // 000000006AFC: 8652FF52 00FFFFFF
	s_mul_i32 s82, s82, s71                                    // 000000006B04: 92524752
	s_mul_i32 s61, s60, s61                                    // 000000006B08: 923D3D3C
	s_add_u32 s82, s82, s61                                    // 000000006B0C: 80523D52
	v_mul_lo_u32 v7, v4, s82                                   // 000000006B10: D2850007 0000A504
	v_add_u32_e32 v55, v6, v7                                  // 000000006B18: 686E0F06
	v_readlane_b32 s82, v3, 12                                 // 000000006B1C: D2890052 00011903
	s_lshr_b32 s61, s82, 24                                    // 000000006B24: 8F3D9852
	s_and_b32 s82, s82, 0xffffff                               // 000000006B28: 8652FF52 00FFFFFF
	s_mul_i32 s82, s82, s71                                    // 000000006B30: 92524752
	s_mul_i32 s61, s60, s61                                    // 000000006B34: 923D3D3C
	s_add_u32 s82, s82, s61                                    // 000000006B38: 80523D52
	v_mul_lo_u32 v6, v5, s82                                   // 000000006B3C: D2850006 0000A505
	v_readlane_b32 s82, v3, 13                                 // 000000006B44: D2890052 00011B03
	s_lshr_b32 s61, s82, 24                                    // 000000006B4C: 8F3D9852
	s_and_b32 s82, s82, 0xffffff                               // 000000006B50: 8652FF52 00FFFFFF
	s_mul_i32 s82, s82, s71                                    // 000000006B58: 92524752
	s_mul_i32 s61, s60, s61                                    // 000000006B5C: 923D3D3C
	s_add_u32 s82, s82, s61                                    // 000000006B60: 80523D52
	v_mul_lo_u32 v7, v4, s82                                   // 000000006B64: D2850007 0000A504
	v_add_u32_e32 v56, v6, v7                                  // 000000006B6C: 68700F06
	v_readlane_b32 s82, v3, 14                                 // 000000006B70: D2890052 00011D03
	s_lshr_b32 s61, s82, 24                                    // 000000006B78: 8F3D9852
	s_and_b32 s82, s82, 0xffffff                               // 000000006B7C: 8652FF52 00FFFFFF
	s_mul_i32 s82, s82, s71                                    // 000000006B84: 92524752
	s_mul_i32 s61, s60, s61                                    // 000000006B88: 923D3D3C
	s_add_u32 s82, s82, s61                                    // 000000006B8C: 80523D52
	v_mul_lo_u32 v6, v5, s82                                   // 000000006B90: D2850006 0000A505
	v_readlane_b32 s82, v3, 15                                 // 000000006B98: D2890052 00011F03
	s_lshr_b32 s61, s82, 24                                    // 000000006BA0: 8F3D9852
	s_and_b32 s82, s82, 0xffffff                               // 000000006BA4: 8652FF52 00FFFFFF
	s_mul_i32 s82, s82, s71                                    // 000000006BAC: 92524752
	s_mul_i32 s61, s60, s61                                    // 000000006BB0: 923D3D3C
	s_add_u32 s82, s82, s61                                    // 000000006BB4: 80523D52
	v_mul_lo_u32 v7, v4, s82                                   // 000000006BB8: D2850007 0000A504
	v_add_u32_e32 v57, v6, v7                                  // 000000006BC0: 68720F06
	v_readlane_b32 s82, v3, 16                                 // 000000006BC4: D2890052 00012103
	s_lshr_b32 s61, s82, 24                                    // 000000006BCC: 8F3D9852
	s_and_b32 s82, s82, 0xffffff                               // 000000006BD0: 8652FF52 00FFFFFF
	s_mul_i32 s82, s82, s71                                    // 000000006BD8: 92524752
	s_mul_i32 s61, s60, s61                                    // 000000006BDC: 923D3D3C
	s_add_u32 s82, s82, s61                                    // 000000006BE0: 80523D52
	v_mul_lo_u32 v6, v5, s82                                   // 000000006BE4: D2850006 0000A505
	v_readlane_b32 s82, v3, 17                                 // 000000006BEC: D2890052 00012303
	s_lshr_b32 s61, s82, 24                                    // 000000006BF4: 8F3D9852
	s_and_b32 s82, s82, 0xffffff                               // 000000006BF8: 8652FF52 00FFFFFF
	s_mul_i32 s82, s82, s71                                    // 000000006C00: 92524752
	s_mul_i32 s61, s60, s61                                    // 000000006C04: 923D3D3C
	s_add_u32 s82, s82, s61                                    // 000000006C08: 80523D52
	v_mul_lo_u32 v7, v4, s82                                   // 000000006C0C: D2850007 0000A504
	v_add_u32_e32 v58, v6, v7                                  // 000000006C14: 68740F06
	v_readlane_b32 s82, v3, 18                                 // 000000006C18: D2890052 00012503
	s_lshr_b32 s61, s82, 24                                    // 000000006C20: 8F3D9852
	s_and_b32 s82, s82, 0xffffff                               // 000000006C24: 8652FF52 00FFFFFF
	s_mul_i32 s82, s82, s71                                    // 000000006C2C: 92524752
	s_mul_i32 s61, s60, s61                                    // 000000006C30: 923D3D3C
	s_add_u32 s82, s82, s61                                    // 000000006C34: 80523D52
	v_mul_lo_u32 v6, v5, s82                                   // 000000006C38: D2850006 0000A505
	v_readlane_b32 s82, v3, 19                                 // 000000006C40: D2890052 00012703
	s_lshr_b32 s61, s82, 24                                    // 000000006C48: 8F3D9852
	s_and_b32 s82, s82, 0xffffff                               // 000000006C4C: 8652FF52 00FFFFFF
	s_mul_i32 s82, s82, s71                                    // 000000006C54: 92524752
	s_mul_i32 s61, s60, s61                                    // 000000006C58: 923D3D3C
	s_add_u32 s82, s82, s61                                    // 000000006C5C: 80523D52
	v_mul_lo_u32 v7, v4, s82                                   // 000000006C60: D2850007 0000A504
	v_add_u32_e32 v59, v6, v7                                  // 000000006C68: 68760F06
	v_and_b32_e32 v4, 31, v0                                   // 000000006C6C: 2608009F
	v_lshrrev_b32_e32 v4, 1, v4                                // 000000006C70: 20080881
	s_cmp_eq_u32 s88, 0                                        // 000000006C74: BF068058
	s_cselect_b32 s61, 2, 4                                    // 000000006C78: 853D8482
	v_mul_lo_u32 v4, v4, s61                                   // 000000006C7C: D2850004 00007B04
	v_and_b32_e64 v5, v0, 1                                    // 000000006C84: D1130005 00010300
	v_add_u32_e32 v4, v4, v5                                   // 000000006C8C: 68080B04
	v_lshlrev_b32_e32 v4, 2, v4                                // 000000006C90: 24080882
	v_add_u32_e32 v50, v50, v4                                 // 000000006C94: 68640932
	v_add_u32_e32 v51, v51, v4                                 // 000000006C98: 68660933
	v_add_u32_e32 v52, v52, v4                                 // 000000006C9C: 68680934
	v_add_u32_e32 v53, v53, v4                                 // 000000006CA0: 686A0935
	v_add_u32_e32 v54, v54, v4                                 // 000000006CA4: 686C0936
	v_add_u32_e32 v55, v55, v4                                 // 000000006CA8: 686E0937
	v_add_u32_e32 v56, v56, v4                                 // 000000006CAC: 68700938
	v_add_u32_e32 v57, v57, v4                                 // 000000006CB0: 68720939
	v_add_u32_e32 v58, v58, v4                                 // 000000006CB4: 6874093A
	v_add_u32_e32 v59, v59, v4                                 // 000000006CB8: 6876093B
	s_waitcnt lgkmcnt(0)                                       // 000000006CBC: BF8CC07F
	s_barrier                                                  // 000000006CC0: BF8A0000
	ds_read_b32 v64, v21                                       // 000000006CC4: D86C0000 40000015
	ds_read_b32 v65, v21 offset:64                             // 000000006CCC: D86C0040 41000015
	ds_read_b32 v68, v21 offset:2176                           // 000000006CD4: D86C0880 44000015
	ds_read_b32 v69, v21 offset:2240                           // 000000006CDC: D86C08C0 45000015
	ds_read_b32 v72, v21 offset:4352                           // 000000006CE4: D86C1100 48000015
	ds_read_b32 v73, v21 offset:4416                           // 000000006CEC: D86C1140 49000015
	ds_read_b32 v76, v21 offset:6528                           // 000000006CF4: D86C1980 4C000015
	ds_read_b32 v77, v21 offset:6592                           // 000000006CFC: D86C19C0 4D000015
	ds_read_b32 v80, v21 offset:8704                           // 000000006D04: D86C2200 50000015
	ds_read_b32 v81, v21 offset:8768                           // 000000006D0C: D86C2240 51000015
	ds_read_b32 v84, v21 offset:10880                          // 000000006D14: D86C2A80 54000015
	ds_read_b32 v85, v21 offset:10944                          // 000000006D1C: D86C2AC0 55000015
	ds_read_b32 v88, v21 offset:13056                          // 000000006D24: D86C3300 58000015
	ds_read_b32 v89, v21 offset:13120                          // 000000006D2C: D86C3340 59000015
	ds_read_b32 v92, v21 offset:15232                          // 000000006D34: D86C3B80 5C000015
	ds_read_b32 v93, v21 offset:15296                          // 000000006D3C: D86C3BC0 5D000015
	ds_read_b32 v96, v21 offset:17408                          // 000000006D44: D86C4400 60000015
	ds_read_b32 v97, v21 offset:17472                          // 000000006D4C: D86C4440 61000015
	ds_read_b32 v100, v21 offset:19584                         // 000000006D54: D86C4C80 64000015
	ds_read_b32 v101, v21 offset:19648                         // 000000006D5C: D86C4CC0 65000015
	s_waitcnt lgkmcnt(0)                                       // 000000006D64: BF8CC07F
	s_mov_b32 s36, -1                                          // 000000006D68: BEA400C1
	s_mov_b32 s37, -1                                          // 000000006D6C: BEA500C1
	v_mov_b32_e32 v7, 0                                        // 000000006D70: 7E0E0280
	s_mov_b64 exec, s[36:37]                                   // 000000006D74: BEFE0124
	v_mov_b32_e32 v6, v50                                      // 000000006D78: 7E0C0332
	s_mov_b64 s[60:61], 0                                      // 000000006D7C: BEBC0180
	v_readlane_b32 s82, v3, 0                                  // 000000006D80: D2890052 00010103
	s_and_b32 s82, s82, 0xffffff                               // 000000006D88: 8652FF52 00FFFFFF
	s_cmp_lt_u32 s82, s66                                      // 000000006D90: BF0A4252
	s_cselect_b32 s20, s36, s60                                // 000000006D94: 85143C24
	v_readlane_b32 s82, v3, 1                                  // 000000006D98: D2890052 00010303
	s_and_b32 s82, s82, 0xffffff                               // 000000006DA0: 8652FF52 00FFFFFF
	s_cmp_lt_u32 s82, s66                                      // 000000006DA8: BF0A4252
	s_cselect_b32 s21, s36, s60                                // 000000006DAC: 85153C24
	s_mov_b64 exec, s[20:21]                                   // 000000006DB0: BEFE0114
	global_atomic_add_f32 v6, v64, s[8:9]                      // 000000006DB4: DD348000 00084006
	global_atomic_add_f32 v6, v68, s[8:9] offset:256           // 000000006DBC: DD348100 00084406
	s_mov_b64 exec, s[36:37]                                   // 000000006DC4: BEFE0124
	v_mov_b32_e32 v6, v51                                      // 000000006DC8: 7E0C0333
	s_mov_b64 s[60:61], 0                                      // 000000006DCC: BEBC0180
	v_readlane_b32 s82, v3, 2                                  // 000000006DD0: D2890052 00010503
	s_and_b32 s82, s82, 0xffffff                               // 000000006DD8: 8652FF52 00FFFFFF
	s_cmp_lt_u32 s82, s66                                      // 000000006DE0: BF0A4252
	s_cselect_b32 s20, s36, s60                                // 000000006DE4: 85143C24
	v_readlane_b32 s82, v3, 3                                  // 000000006DE8: D2890052 00010703
	s_and_b32 s82, s82, 0xffffff                               // 000000006DF0: 8652FF52 00FFFFFF
	s_cmp_lt_u32 s82, s66                                      // 000000006DF8: BF0A4252
	s_cselect_b32 s21, s36, s60                                // 000000006DFC: 85153C24
	s_mov_b64 exec, s[20:21]                                   // 000000006E00: BEFE0114
	global_atomic_add_f32 v6, v65, s[8:9]                      // 000000006E04: DD348000 00084106
	global_atomic_add_f32 v6, v69, s[8:9] offset:256           // 000000006E0C: DD348100 00084506
	s_mov_b64 exec, s[36:37]                                   // 000000006E14: BEFE0124
	v_mov_b32_e32 v6, v52                                      // 000000006E18: 7E0C0334
	s_mov_b64 s[60:61], 0                                      // 000000006E1C: BEBC0180
	v_readlane_b32 s82, v3, 4                                  // 000000006E20: D2890052 00010903
	s_and_b32 s82, s82, 0xffffff                               // 000000006E28: 8652FF52 00FFFFFF
	s_cmp_lt_u32 s82, s66                                      // 000000006E30: BF0A4252
	s_cselect_b32 s20, s36, s60                                // 000000006E34: 85143C24
	v_readlane_b32 s82, v3, 5                                  // 000000006E38: D2890052 00010B03
	s_and_b32 s82, s82, 0xffffff                               // 000000006E40: 8652FF52 00FFFFFF
	s_cmp_lt_u32 s82, s66                                      // 000000006E48: BF0A4252
	s_cselect_b32 s21, s36, s60                                // 000000006E4C: 85153C24
	s_mov_b64 exec, s[20:21]                                   // 000000006E50: BEFE0114
	global_atomic_add_f32 v6, v72, s[8:9]                      // 000000006E54: DD348000 00084806
	global_atomic_add_f32 v6, v76, s[8:9] offset:256           // 000000006E5C: DD348100 00084C06
	s_mov_b64 exec, s[36:37]                                   // 000000006E64: BEFE0124
	v_mov_b32_e32 v6, v53                                      // 000000006E68: 7E0C0335
	s_mov_b64 s[60:61], 0                                      // 000000006E6C: BEBC0180
	v_readlane_b32 s82, v3, 6                                  // 000000006E70: D2890052 00010D03
	s_and_b32 s82, s82, 0xffffff                               // 000000006E78: 8652FF52 00FFFFFF
	s_cmp_lt_u32 s82, s66                                      // 000000006E80: BF0A4252
	s_cselect_b32 s20, s36, s60                                // 000000006E84: 85143C24
	v_readlane_b32 s82, v3, 7                                  // 000000006E88: D2890052 00010F03
	s_and_b32 s82, s82, 0xffffff                               // 000000006E90: 8652FF52 00FFFFFF
	s_cmp_lt_u32 s82, s66                                      // 000000006E98: BF0A4252
	s_cselect_b32 s21, s36, s60                                // 000000006E9C: 85153C24
	s_mov_b64 exec, s[20:21]                                   // 000000006EA0: BEFE0114
	global_atomic_add_f32 v6, v73, s[8:9]                      // 000000006EA4: DD348000 00084906
	global_atomic_add_f32 v6, v77, s[8:9] offset:256           // 000000006EAC: DD348100 00084D06
	s_mov_b64 exec, s[36:37]                                   // 000000006EB4: BEFE0124
	v_mov_b32_e32 v6, v54                                      // 000000006EB8: 7E0C0336
	s_mov_b64 s[60:61], 0                                      // 000000006EBC: BEBC0180
	v_readlane_b32 s82, v3, 8                                  // 000000006EC0: D2890052 00011103
	s_and_b32 s82, s82, 0xffffff                               // 000000006EC8: 8652FF52 00FFFFFF
	s_cmp_lt_u32 s82, s66                                      // 000000006ED0: BF0A4252
	s_cselect_b32 s20, s36, s60                                // 000000006ED4: 85143C24
	v_readlane_b32 s82, v3, 9                                  // 000000006ED8: D2890052 00011303
	s_and_b32 s82, s82, 0xffffff                               // 000000006EE0: 8652FF52 00FFFFFF
	s_cmp_lt_u32 s82, s66                                      // 000000006EE8: BF0A4252
	s_cselect_b32 s21, s36, s60                                // 000000006EEC: 85153C24
	s_mov_b64 exec, s[20:21]                                   // 000000006EF0: BEFE0114
	global_atomic_add_f32 v6, v80, s[8:9]                      // 000000006EF4: DD348000 00085006
	global_atomic_add_f32 v6, v84, s[8:9] offset:256           // 000000006EFC: DD348100 00085406
	s_mov_b64 exec, s[36:37]                                   // 000000006F04: BEFE0124
	v_mov_b32_e32 v6, v55                                      // 000000006F08: 7E0C0337
	s_mov_b64 s[60:61], 0                                      // 000000006F0C: BEBC0180
	v_readlane_b32 s82, v3, 10                                 // 000000006F10: D2890052 00011503
	s_and_b32 s82, s82, 0xffffff                               // 000000006F18: 8652FF52 00FFFFFF
	s_cmp_lt_u32 s82, s66                                      // 000000006F20: BF0A4252
	s_cselect_b32 s20, s36, s60                                // 000000006F24: 85143C24
	v_readlane_b32 s82, v3, 11                                 // 000000006F28: D2890052 00011703
	s_and_b32 s82, s82, 0xffffff                               // 000000006F30: 8652FF52 00FFFFFF
	s_cmp_lt_u32 s82, s66                                      // 000000006F38: BF0A4252
	s_cselect_b32 s21, s36, s60                                // 000000006F3C: 85153C24
	s_mov_b64 exec, s[20:21]                                   // 000000006F40: BEFE0114
	global_atomic_add_f32 v6, v81, s[8:9]                      // 000000006F44: DD348000 00085106
	global_atomic_add_f32 v6, v85, s[8:9] offset:256           // 000000006F4C: DD348100 00085506
	s_mov_b64 exec, s[36:37]                                   // 000000006F54: BEFE0124
	v_mov_b32_e32 v6, v56                                      // 000000006F58: 7E0C0338
	s_mov_b64 s[60:61], 0                                      // 000000006F5C: BEBC0180
	v_readlane_b32 s82, v3, 12                                 // 000000006F60: D2890052 00011903
	s_and_b32 s82, s82, 0xffffff                               // 000000006F68: 8652FF52 00FFFFFF
	s_cmp_lt_u32 s82, s66                                      // 000000006F70: BF0A4252
	s_cselect_b32 s20, s36, s60                                // 000000006F74: 85143C24
	v_readlane_b32 s82, v3, 13                                 // 000000006F78: D2890052 00011B03
	s_and_b32 s82, s82, 0xffffff                               // 000000006F80: 8652FF52 00FFFFFF
	s_cmp_lt_u32 s82, s66                                      // 000000006F88: BF0A4252
	s_cselect_b32 s21, s36, s60                                // 000000006F8C: 85153C24
	s_mov_b64 exec, s[20:21]                                   // 000000006F90: BEFE0114
	global_atomic_add_f32 v6, v88, s[8:9]                      // 000000006F94: DD348000 00085806
	global_atomic_add_f32 v6, v92, s[8:9] offset:256           // 000000006F9C: DD348100 00085C06
	s_mov_b64 exec, s[36:37]                                   // 000000006FA4: BEFE0124
	v_mov_b32_e32 v6, v57                                      // 000000006FA8: 7E0C0339
	s_mov_b64 s[60:61], 0                                      // 000000006FAC: BEBC0180
	v_readlane_b32 s82, v3, 14                                 // 000000006FB0: D2890052 00011D03
	s_and_b32 s82, s82, 0xffffff                               // 000000006FB8: 8652FF52 00FFFFFF
	s_cmp_lt_u32 s82, s66                                      // 000000006FC0: BF0A4252
	s_cselect_b32 s20, s36, s60                                // 000000006FC4: 85143C24
	v_readlane_b32 s82, v3, 15                                 // 000000006FC8: D2890052 00011F03
	s_and_b32 s82, s82, 0xffffff                               // 000000006FD0: 8652FF52 00FFFFFF
	s_cmp_lt_u32 s82, s66                                      // 000000006FD8: BF0A4252
	s_cselect_b32 s21, s36, s60                                // 000000006FDC: 85153C24
	s_mov_b64 exec, s[20:21]                                   // 000000006FE0: BEFE0114
	global_atomic_add_f32 v6, v89, s[8:9]                      // 000000006FE4: DD348000 00085906
	global_atomic_add_f32 v6, v93, s[8:9] offset:256           // 000000006FEC: DD348100 00085D06
	s_mov_b64 exec, s[36:37]                                   // 000000006FF4: BEFE0124
	v_mov_b32_e32 v6, v58                                      // 000000006FF8: 7E0C033A
	s_mov_b64 s[60:61], 0                                      // 000000006FFC: BEBC0180
	v_readlane_b32 s82, v3, 16                                 // 000000007000: D2890052 00012103
	s_and_b32 s82, s82, 0xffffff                               // 000000007008: 8652FF52 00FFFFFF
	s_cmp_lt_u32 s82, s66                                      // 000000007010: BF0A4252
	s_cselect_b32 s20, s36, s60                                // 000000007014: 85143C24
	v_readlane_b32 s82, v3, 17                                 // 000000007018: D2890052 00012303
	s_and_b32 s82, s82, 0xffffff                               // 000000007020: 8652FF52 00FFFFFF
	s_cmp_lt_u32 s82, s66                                      // 000000007028: BF0A4252
	s_cselect_b32 s21, s36, s60                                // 00000000702C: 85153C24
	s_mov_b64 exec, s[20:21]                                   // 000000007030: BEFE0114
	global_atomic_add_f32 v6, v96, s[8:9]                      // 000000007034: DD348000 00086006
	global_atomic_add_f32 v6, v100, s[8:9] offset:256          // 00000000703C: DD348100 00086406
	s_mov_b64 exec, s[36:37]                                   // 000000007044: BEFE0124
	v_mov_b32_e32 v6, v59                                      // 000000007048: 7E0C033B
	s_mov_b64 s[60:61], 0                                      // 00000000704C: BEBC0180
	v_readlane_b32 s82, v3, 18                                 // 000000007050: D2890052 00012503
	s_and_b32 s82, s82, 0xffffff                               // 000000007058: 8652FF52 00FFFFFF
	s_cmp_lt_u32 s82, s66                                      // 000000007060: BF0A4252
	s_cselect_b32 s20, s36, s60                                // 000000007064: 85143C24
	v_readlane_b32 s82, v3, 19                                 // 000000007068: D2890052 00012703
	s_and_b32 s82, s82, 0xffffff                               // 000000007070: 8652FF52 00FFFFFF
	s_cmp_lt_u32 s82, s66                                      // 000000007078: BF0A4252
	s_cselect_b32 s21, s36, s60                                // 00000000707C: 85153C24
	s_mov_b64 exec, s[20:21]                                   // 000000007080: BEFE0114
	global_atomic_add_f32 v6, v97, s[8:9]                      // 000000007084: DD348000 00086106
	global_atomic_add_f32 v6, v101, s[8:9] offset:256          // 00000000708C: DD348100 00086506
	s_mov_b64 exec, s[36:37]                                   // 000000007094: BEFE0124
	ds_write_b64 v20, v[66:67]                                 // 000000007098: D89A0000 00004214
	ds_write_b64 v20, v[70:71] offset:4352                     // 0000000070A0: D89A1100 00004614
	ds_write_b64 v20, v[74:75] offset:8704                     // 0000000070A8: D89A2200 00004A14
	ds_write_b64 v20, v[78:79] offset:13056                    // 0000000070B0: D89A3300 00004E14
	ds_write_b64 v20, v[82:83] offset:17408                    // 0000000070B8: D89A4400 00005214
	ds_write_b64 v20, v[86:87] offset:2176                     // 0000000070C0: D89A0880 00005614
	ds_write_b64 v20, v[90:91] offset:6528                     // 0000000070C8: D89A1980 00005A14
	ds_write_b64 v20, v[94:95] offset:10880                    // 0000000070D0: D89A2A80 00005E14
	ds_write_b64 v20, v[98:99] offset:15232                    // 0000000070D8: D89A3B80 00006214
	ds_write_b64 v20, v[102:103] offset:19584                  // 0000000070E0: D89A4C80 00006614
	s_waitcnt lgkmcnt(0)                                       // 0000000070E8: BF8CC07F
	s_barrier                                                  // 0000000070EC: BF8A0000
	ds_read_b32 v66, v21                                       // 0000000070F0: D86C0000 42000015
	ds_read_b32 v67, v21 offset:64                             // 0000000070F8: D86C0040 43000015
	ds_read_b32 v70, v21 offset:2176                           // 000000007100: D86C0880 46000015
	ds_read_b32 v71, v21 offset:2240                           // 000000007108: D86C08C0 47000015
	ds_read_b32 v74, v21 offset:4352                           // 000000007110: D86C1100 4A000015
	ds_read_b32 v75, v21 offset:4416                           // 000000007118: D86C1140 4B000015
	ds_read_b32 v78, v21 offset:6528                           // 000000007120: D86C1980 4E000015
	ds_read_b32 v79, v21 offset:6592                           // 000000007128: D86C19C0 4F000015
	ds_read_b32 v82, v21 offset:8704                           // 000000007130: D86C2200 52000015
	ds_read_b32 v83, v21 offset:8768                           // 000000007138: D86C2240 53000015
	ds_read_b32 v86, v21 offset:10880                          // 000000007140: D86C2A80 56000015
	ds_read_b32 v87, v21 offset:10944                          // 000000007148: D86C2AC0 57000015
	ds_read_b32 v90, v21 offset:13056                          // 000000007150: D86C3300 5A000015
	ds_read_b32 v91, v21 offset:13120                          // 000000007158: D86C3340 5B000015
	ds_read_b32 v94, v21 offset:15232                          // 000000007160: D86C3B80 5E000015
	ds_read_b32 v95, v21 offset:15296                          // 000000007168: D86C3BC0 5F000015
	ds_read_b32 v98, v21 offset:17408                          // 000000007170: D86C4400 62000015
	ds_read_b32 v99, v21 offset:17472                          // 000000007178: D86C4440 63000015
	ds_read_b32 v102, v21 offset:19584                         // 000000007180: D86C4C80 66000015
	ds_read_b32 v103, v21 offset:19648                         // 000000007188: D86C4CC0 67000015
	s_waitcnt lgkmcnt(0)                                       // 000000007190: BF8CC07F
	v_mov_b32_e32 v7, 0                                        // 000000007194: 7E0E0280
	s_mov_b64 exec, s[36:37]                                   // 000000007198: BEFE0124
	v_mov_b32_e32 v6, v50                                      // 00000000719C: 7E0C0332
	s_mov_b64 s[60:61], 0                                      // 0000000071A0: BEBC0180
	v_readlane_b32 s82, v3, 0                                  // 0000000071A4: D2890052 00010103
	s_and_b32 s82, s82, 0xffffff                               // 0000000071AC: 8652FF52 00FFFFFF
	s_cmp_lt_u32 s82, s66                                      // 0000000071B4: BF0A4252
	s_cselect_b32 s20, s36, s60                                // 0000000071B8: 85143C24
	v_readlane_b32 s82, v3, 1                                  // 0000000071BC: D2890052 00010303
	s_and_b32 s82, s82, 0xffffff                               // 0000000071C4: 8652FF52 00FFFFFF
	s_cmp_lt_u32 s82, s66                                      // 0000000071CC: BF0A4252
	s_cselect_b32 s21, s36, s60                                // 0000000071D0: 85153C24
	s_mov_b64 exec, s[20:21]                                   // 0000000071D4: BEFE0114
	global_atomic_add_f32 v6, v66, s[8:9] offset:8             // 0000000071D8: DD348008 00084206
	global_atomic_add_f32 v6, v70, s[8:9] offset:264           // 0000000071E0: DD348108 00084606
	s_mov_b64 exec, s[36:37]                                   // 0000000071E8: BEFE0124
	v_mov_b32_e32 v6, v51                                      // 0000000071EC: 7E0C0333
	s_mov_b64 s[60:61], 0                                      // 0000000071F0: BEBC0180
	v_readlane_b32 s82, v3, 2                                  // 0000000071F4: D2890052 00010503
	s_and_b32 s82, s82, 0xffffff                               // 0000000071FC: 8652FF52 00FFFFFF
	s_cmp_lt_u32 s82, s66                                      // 000000007204: BF0A4252
	s_cselect_b32 s20, s36, s60                                // 000000007208: 85143C24
	v_readlane_b32 s82, v3, 3                                  // 00000000720C: D2890052 00010703
	s_and_b32 s82, s82, 0xffffff                               // 000000007214: 8652FF52 00FFFFFF
	s_cmp_lt_u32 s82, s66                                      // 00000000721C: BF0A4252
	s_cselect_b32 s21, s36, s60                                // 000000007220: 85153C24
	s_mov_b64 exec, s[20:21]                                   // 000000007224: BEFE0114
	global_atomic_add_f32 v6, v67, s[8:9] offset:8             // 000000007228: DD348008 00084306
	global_atomic_add_f32 v6, v71, s[8:9] offset:264           // 000000007230: DD348108 00084706
	s_mov_b64 exec, s[36:37]                                   // 000000007238: BEFE0124
	v_mov_b32_e32 v6, v52                                      // 00000000723C: 7E0C0334
	s_mov_b64 s[60:61], 0                                      // 000000007240: BEBC0180
	v_readlane_b32 s82, v3, 4                                  // 000000007244: D2890052 00010903
	s_and_b32 s82, s82, 0xffffff                               // 00000000724C: 8652FF52 00FFFFFF
	s_cmp_lt_u32 s82, s66                                      // 000000007254: BF0A4252
	s_cselect_b32 s20, s36, s60                                // 000000007258: 85143C24
	v_readlane_b32 s82, v3, 5                                  // 00000000725C: D2890052 00010B03
	s_and_b32 s82, s82, 0xffffff                               // 000000007264: 8652FF52 00FFFFFF
	s_cmp_lt_u32 s82, s66                                      // 00000000726C: BF0A4252
	s_cselect_b32 s21, s36, s60                                // 000000007270: 85153C24
	s_mov_b64 exec, s[20:21]                                   // 000000007274: BEFE0114
	global_atomic_add_f32 v6, v74, s[8:9] offset:8             // 000000007278: DD348008 00084A06
	global_atomic_add_f32 v6, v78, s[8:9] offset:264           // 000000007280: DD348108 00084E06
	s_mov_b64 exec, s[36:37]                                   // 000000007288: BEFE0124
	v_mov_b32_e32 v6, v53                                      // 00000000728C: 7E0C0335
	s_mov_b64 s[60:61], 0                                      // 000000007290: BEBC0180
	v_readlane_b32 s82, v3, 6                                  // 000000007294: D2890052 00010D03
	s_and_b32 s82, s82, 0xffffff                               // 00000000729C: 8652FF52 00FFFFFF
	s_cmp_lt_u32 s82, s66                                      // 0000000072A4: BF0A4252
	s_cselect_b32 s20, s36, s60                                // 0000000072A8: 85143C24
	v_readlane_b32 s82, v3, 7                                  // 0000000072AC: D2890052 00010F03
	s_and_b32 s82, s82, 0xffffff                               // 0000000072B4: 8652FF52 00FFFFFF
	s_cmp_lt_u32 s82, s66                                      // 0000000072BC: BF0A4252
	s_cselect_b32 s21, s36, s60                                // 0000000072C0: 85153C24
	s_mov_b64 exec, s[20:21]                                   // 0000000072C4: BEFE0114
	global_atomic_add_f32 v6, v75, s[8:9] offset:8             // 0000000072C8: DD348008 00084B06
	global_atomic_add_f32 v6, v79, s[8:9] offset:264           // 0000000072D0: DD348108 00084F06
	s_mov_b64 exec, s[36:37]                                   // 0000000072D8: BEFE0124
	v_mov_b32_e32 v6, v54                                      // 0000000072DC: 7E0C0336
	s_mov_b64 s[60:61], 0                                      // 0000000072E0: BEBC0180
	v_readlane_b32 s82, v3, 8                                  // 0000000072E4: D2890052 00011103
	s_and_b32 s82, s82, 0xffffff                               // 0000000072EC: 8652FF52 00FFFFFF
	s_cmp_lt_u32 s82, s66                                      // 0000000072F4: BF0A4252
	s_cselect_b32 s20, s36, s60                                // 0000000072F8: 85143C24
	v_readlane_b32 s82, v3, 9                                  // 0000000072FC: D2890052 00011303
	s_and_b32 s82, s82, 0xffffff                               // 000000007304: 8652FF52 00FFFFFF
	s_cmp_lt_u32 s82, s66                                      // 00000000730C: BF0A4252
	s_cselect_b32 s21, s36, s60                                // 000000007310: 85153C24
	s_mov_b64 exec, s[20:21]                                   // 000000007314: BEFE0114
	global_atomic_add_f32 v6, v82, s[8:9] offset:8             // 000000007318: DD348008 00085206
	global_atomic_add_f32 v6, v86, s[8:9] offset:264           // 000000007320: DD348108 00085606
	s_mov_b64 exec, s[36:37]                                   // 000000007328: BEFE0124
	v_mov_b32_e32 v6, v55                                      // 00000000732C: 7E0C0337
	s_mov_b64 s[60:61], 0                                      // 000000007330: BEBC0180
	v_readlane_b32 s82, v3, 10                                 // 000000007334: D2890052 00011503
	s_and_b32 s82, s82, 0xffffff                               // 00000000733C: 8652FF52 00FFFFFF
	s_cmp_lt_u32 s82, s66                                      // 000000007344: BF0A4252
	s_cselect_b32 s20, s36, s60                                // 000000007348: 85143C24
	v_readlane_b32 s82, v3, 11                                 // 00000000734C: D2890052 00011703
	s_and_b32 s82, s82, 0xffffff                               // 000000007354: 8652FF52 00FFFFFF
	s_cmp_lt_u32 s82, s66                                      // 00000000735C: BF0A4252
	s_cselect_b32 s21, s36, s60                                // 000000007360: 85153C24
	s_mov_b64 exec, s[20:21]                                   // 000000007364: BEFE0114
	global_atomic_add_f32 v6, v83, s[8:9] offset:8             // 000000007368: DD348008 00085306
	global_atomic_add_f32 v6, v87, s[8:9] offset:264           // 000000007370: DD348108 00085706
	s_mov_b64 exec, s[36:37]                                   // 000000007378: BEFE0124
	v_mov_b32_e32 v6, v56                                      // 00000000737C: 7E0C0338
	s_mov_b64 s[60:61], 0                                      // 000000007380: BEBC0180
	v_readlane_b32 s82, v3, 12                                 // 000000007384: D2890052 00011903
	s_and_b32 s82, s82, 0xffffff                               // 00000000738C: 8652FF52 00FFFFFF
	s_cmp_lt_u32 s82, s66                                      // 000000007394: BF0A4252
	s_cselect_b32 s20, s36, s60                                // 000000007398: 85143C24
	v_readlane_b32 s82, v3, 13                                 // 00000000739C: D2890052 00011B03
	s_and_b32 s82, s82, 0xffffff                               // 0000000073A4: 8652FF52 00FFFFFF
	s_cmp_lt_u32 s82, s66                                      // 0000000073AC: BF0A4252
	s_cselect_b32 s21, s36, s60                                // 0000000073B0: 85153C24
	s_mov_b64 exec, s[20:21]                                   // 0000000073B4: BEFE0114
	global_atomic_add_f32 v6, v90, s[8:9] offset:8             // 0000000073B8: DD348008 00085A06
	global_atomic_add_f32 v6, v94, s[8:9] offset:264           // 0000000073C0: DD348108 00085E06
	s_mov_b64 exec, s[36:37]                                   // 0000000073C8: BEFE0124
	v_mov_b32_e32 v6, v57                                      // 0000000073CC: 7E0C0339
	s_mov_b64 s[60:61], 0                                      // 0000000073D0: BEBC0180
	v_readlane_b32 s82, v3, 14                                 // 0000000073D4: D2890052 00011D03
	s_and_b32 s82, s82, 0xffffff                               // 0000000073DC: 8652FF52 00FFFFFF
	s_cmp_lt_u32 s82, s66                                      // 0000000073E4: BF0A4252
	s_cselect_b32 s20, s36, s60                                // 0000000073E8: 85143C24
	v_readlane_b32 s82, v3, 15                                 // 0000000073EC: D2890052 00011F03
	s_and_b32 s82, s82, 0xffffff                               // 0000000073F4: 8652FF52 00FFFFFF
	s_cmp_lt_u32 s82, s66                                      // 0000000073FC: BF0A4252
	s_cselect_b32 s21, s36, s60                                // 000000007400: 85153C24
	s_mov_b64 exec, s[20:21]                                   // 000000007404: BEFE0114
	global_atomic_add_f32 v6, v91, s[8:9] offset:8             // 000000007408: DD348008 00085B06
	global_atomic_add_f32 v6, v95, s[8:9] offset:264           // 000000007410: DD348108 00085F06
	s_mov_b64 exec, s[36:37]                                   // 000000007418: BEFE0124
	v_mov_b32_e32 v6, v58                                      // 00000000741C: 7E0C033A
	s_mov_b64 s[60:61], 0                                      // 000000007420: BEBC0180
	v_readlane_b32 s82, v3, 16                                 // 000000007424: D2890052 00012103
	s_and_b32 s82, s82, 0xffffff                               // 00000000742C: 8652FF52 00FFFFFF
	s_cmp_lt_u32 s82, s66                                      // 000000007434: BF0A4252
	s_cselect_b32 s20, s36, s60                                // 000000007438: 85143C24
	v_readlane_b32 s82, v3, 17                                 // 00000000743C: D2890052 00012303
	s_and_b32 s82, s82, 0xffffff                               // 000000007444: 8652FF52 00FFFFFF
	s_cmp_lt_u32 s82, s66                                      // 00000000744C: BF0A4252
	s_cselect_b32 s21, s36, s60                                // 000000007450: 85153C24
	s_mov_b64 exec, s[20:21]                                   // 000000007454: BEFE0114
	global_atomic_add_f32 v6, v98, s[8:9] offset:8             // 000000007458: DD348008 00086206
	global_atomic_add_f32 v6, v102, s[8:9] offset:264          // 000000007460: DD348108 00086606
	s_mov_b64 exec, s[36:37]                                   // 000000007468: BEFE0124
	v_mov_b32_e32 v6, v59                                      // 00000000746C: 7E0C033B
	s_mov_b64 s[60:61], 0                                      // 000000007470: BEBC0180
	v_readlane_b32 s82, v3, 18                                 // 000000007474: D2890052 00012503
	s_and_b32 s82, s82, 0xffffff                               // 00000000747C: 8652FF52 00FFFFFF
	s_cmp_lt_u32 s82, s66                                      // 000000007484: BF0A4252
	s_cselect_b32 s20, s36, s60                                // 000000007488: 85143C24
	v_readlane_b32 s82, v3, 19                                 // 00000000748C: D2890052 00012703
	s_and_b32 s82, s82, 0xffffff                               // 000000007494: 8652FF52 00FFFFFF
	s_cmp_lt_u32 s82, s66                                      // 00000000749C: BF0A4252
	s_cselect_b32 s21, s36, s60                                // 0000000074A0: 85153C24
	s_mov_b64 exec, s[20:21]                                   // 0000000074A4: BEFE0114
	global_atomic_add_f32 v6, v99, s[8:9] offset:8             // 0000000074A8: DD348008 00086306
	global_atomic_add_f32 v6, v103, s[8:9] offset:264          // 0000000074B0: DD348108 00086706
	s_mov_b64 exec, s[36:37]                                   // 0000000074B8: BEFE0124
	ds_write_b64 v20, v[104:105]                               // 0000000074BC: D89A0000 00006814
	ds_write_b64 v20, v[108:109] offset:4352                   // 0000000074C4: D89A1100 00006C14
	ds_write_b64 v20, v[112:113] offset:8704                   // 0000000074CC: D89A2200 00007014
	ds_write_b64 v20, v[116:117] offset:13056                  // 0000000074D4: D89A3300 00007414
	ds_write_b64 v20, v[120:121] offset:17408                  // 0000000074DC: D89A4400 00007814
	ds_write_b64 v20, v[124:125] offset:2176                   // 0000000074E4: D89A0880 00007C14
	ds_write_b64 v20, v[128:129] offset:6528                   // 0000000074EC: D89A1980 00008014
	ds_write_b64 v20, v[132:133] offset:10880                  // 0000000074F4: D89A2A80 00008414
	ds_write_b64 v20, v[136:137] offset:15232                  // 0000000074FC: D89A3B80 00008814
	ds_write_b64 v20, v[140:141] offset:19584                  // 000000007504: D89A4C80 00008C14
	s_waitcnt lgkmcnt(0)                                       // 00000000750C: BF8CC07F
	s_barrier                                                  // 000000007510: BF8A0000
	ds_read_b32 v104, v21                                      // 000000007514: D86C0000 68000015
	ds_read_b32 v105, v21 offset:64                            // 00000000751C: D86C0040 69000015
	ds_read_b32 v108, v21 offset:2176                          // 000000007524: D86C0880 6C000015
	ds_read_b32 v109, v21 offset:2240                          // 00000000752C: D86C08C0 6D000015
	ds_read_b32 v112, v21 offset:4352                          // 000000007534: D86C1100 70000015
	ds_read_b32 v113, v21 offset:4416                          // 00000000753C: D86C1140 71000015
	ds_read_b32 v116, v21 offset:6528                          // 000000007544: D86C1980 74000015
	ds_read_b32 v117, v21 offset:6592                          // 00000000754C: D86C19C0 75000015
	ds_read_b32 v120, v21 offset:8704                          // 000000007554: D86C2200 78000015
	ds_read_b32 v121, v21 offset:8768                          // 00000000755C: D86C2240 79000015
	ds_read_b32 v124, v21 offset:10880                         // 000000007564: D86C2A80 7C000015
	ds_read_b32 v125, v21 offset:10944                         // 00000000756C: D86C2AC0 7D000015
	ds_read_b32 v128, v21 offset:13056                         // 000000007574: D86C3300 80000015
	ds_read_b32 v129, v21 offset:13120                         // 00000000757C: D86C3340 81000015
	ds_read_b32 v132, v21 offset:15232                         // 000000007584: D86C3B80 84000015
	ds_read_b32 v133, v21 offset:15296                         // 00000000758C: D86C3BC0 85000015
	ds_read_b32 v136, v21 offset:17408                         // 000000007594: D86C4400 88000015
	ds_read_b32 v137, v21 offset:17472                         // 00000000759C: D86C4440 89000015
	ds_read_b32 v140, v21 offset:19584                         // 0000000075A4: D86C4C80 8C000015
	ds_read_b32 v141, v21 offset:19648                         // 0000000075AC: D86C4CC0 8D000015
	s_mul_i32 s60, s65, 4                                      // 0000000075B4: 923C8441
	s_add_u32 s8, s60, s8                                      // 0000000075B8: 8008083C
	s_addc_u32 s9, 0, s9                                       // 0000000075BC: 82090980
	s_waitcnt lgkmcnt(0)                                       // 0000000075C0: BF8CC07F
	v_mov_b32_e32 v7, 0                                        // 0000000075C4: 7E0E0280
	s_mov_b64 exec, s[36:37]                                   // 0000000075C8: BEFE0124
	v_mov_b32_e32 v6, v50                                      // 0000000075CC: 7E0C0332
	s_mov_b64 s[60:61], 0                                      // 0000000075D0: BEBC0180
	v_readlane_b32 s82, v3, 0                                  // 0000000075D4: D2890052 00010103
	s_and_b32 s82, s82, 0xffffff                               // 0000000075DC: 8652FF52 00FFFFFF
	s_cmp_lt_u32 s82, s66                                      // 0000000075E4: BF0A4252
	s_cselect_b32 s20, s36, s60                                // 0000000075E8: 85143C24
	v_readlane_b32 s82, v3, 1                                  // 0000000075EC: D2890052 00010303
	s_and_b32 s82, s82, 0xffffff                               // 0000000075F4: 8652FF52 00FFFFFF
	s_cmp_lt_u32 s82, s66                                      // 0000000075FC: BF0A4252
	s_cselect_b32 s21, s36, s60                                // 000000007600: 85153C24
	s_mov_b64 exec, s[20:21]                                   // 000000007604: BEFE0114
	global_atomic_add_f32 v6, v104, s[8:9]                     // 000000007608: DD348000 00086806
	global_atomic_add_f32 v6, v108, s[8:9] offset:256          // 000000007610: DD348100 00086C06
	s_mov_b64 exec, s[36:37]                                   // 000000007618: BEFE0124
	v_mov_b32_e32 v6, v51                                      // 00000000761C: 7E0C0333
	s_mov_b64 s[60:61], 0                                      // 000000007620: BEBC0180
	v_readlane_b32 s82, v3, 2                                  // 000000007624: D2890052 00010503
	s_and_b32 s82, s82, 0xffffff                               // 00000000762C: 8652FF52 00FFFFFF
	s_cmp_lt_u32 s82, s66                                      // 000000007634: BF0A4252
	s_cselect_b32 s20, s36, s60                                // 000000007638: 85143C24
	v_readlane_b32 s82, v3, 3                                  // 00000000763C: D2890052 00010703
	s_and_b32 s82, s82, 0xffffff                               // 000000007644: 8652FF52 00FFFFFF
	s_cmp_lt_u32 s82, s66                                      // 00000000764C: BF0A4252
	s_cselect_b32 s21, s36, s60                                // 000000007650: 85153C24
	s_mov_b64 exec, s[20:21]                                   // 000000007654: BEFE0114
	global_atomic_add_f32 v6, v105, s[8:9]                     // 000000007658: DD348000 00086906
	global_atomic_add_f32 v6, v109, s[8:9] offset:256          // 000000007660: DD348100 00086D06
	s_mov_b64 exec, s[36:37]                                   // 000000007668: BEFE0124
	v_mov_b32_e32 v6, v52                                      // 00000000766C: 7E0C0334
	s_mov_b64 s[60:61], 0                                      // 000000007670: BEBC0180
	v_readlane_b32 s82, v3, 4                                  // 000000007674: D2890052 00010903
	s_and_b32 s82, s82, 0xffffff                               // 00000000767C: 8652FF52 00FFFFFF
	s_cmp_lt_u32 s82, s66                                      // 000000007684: BF0A4252
	s_cselect_b32 s20, s36, s60                                // 000000007688: 85143C24
	v_readlane_b32 s82, v3, 5                                  // 00000000768C: D2890052 00010B03
	s_and_b32 s82, s82, 0xffffff                               // 000000007694: 8652FF52 00FFFFFF
	s_cmp_lt_u32 s82, s66                                      // 00000000769C: BF0A4252
	s_cselect_b32 s21, s36, s60                                // 0000000076A0: 85153C24
	s_mov_b64 exec, s[20:21]                                   // 0000000076A4: BEFE0114
	global_atomic_add_f32 v6, v112, s[8:9]                     // 0000000076A8: DD348000 00087006
	global_atomic_add_f32 v6, v116, s[8:9] offset:256          // 0000000076B0: DD348100 00087406
	s_mov_b64 exec, s[36:37]                                   // 0000000076B8: BEFE0124
	v_mov_b32_e32 v6, v53                                      // 0000000076BC: 7E0C0335
	s_mov_b64 s[60:61], 0                                      // 0000000076C0: BEBC0180
	v_readlane_b32 s82, v3, 6                                  // 0000000076C4: D2890052 00010D03
	s_and_b32 s82, s82, 0xffffff                               // 0000000076CC: 8652FF52 00FFFFFF
	s_cmp_lt_u32 s82, s66                                      // 0000000076D4: BF0A4252
	s_cselect_b32 s20, s36, s60                                // 0000000076D8: 85143C24
	v_readlane_b32 s82, v3, 7                                  // 0000000076DC: D2890052 00010F03
	s_and_b32 s82, s82, 0xffffff                               // 0000000076E4: 8652FF52 00FFFFFF
	s_cmp_lt_u32 s82, s66                                      // 0000000076EC: BF0A4252
	s_cselect_b32 s21, s36, s60                                // 0000000076F0: 85153C24
	s_mov_b64 exec, s[20:21]                                   // 0000000076F4: BEFE0114
	global_atomic_add_f32 v6, v113, s[8:9]                     // 0000000076F8: DD348000 00087106
	global_atomic_add_f32 v6, v117, s[8:9] offset:256          // 000000007700: DD348100 00087506
	s_mov_b64 exec, s[36:37]                                   // 000000007708: BEFE0124
	v_mov_b32_e32 v6, v54                                      // 00000000770C: 7E0C0336
	s_mov_b64 s[60:61], 0                                      // 000000007710: BEBC0180
	v_readlane_b32 s82, v3, 8                                  // 000000007714: D2890052 00011103
	s_and_b32 s82, s82, 0xffffff                               // 00000000771C: 8652FF52 00FFFFFF
	s_cmp_lt_u32 s82, s66                                      // 000000007724: BF0A4252
	s_cselect_b32 s20, s36, s60                                // 000000007728: 85143C24
	v_readlane_b32 s82, v3, 9                                  // 00000000772C: D2890052 00011303
	s_and_b32 s82, s82, 0xffffff                               // 000000007734: 8652FF52 00FFFFFF
	s_cmp_lt_u32 s82, s66                                      // 00000000773C: BF0A4252
	s_cselect_b32 s21, s36, s60                                // 000000007740: 85153C24
	s_mov_b64 exec, s[20:21]                                   // 000000007744: BEFE0114
	global_atomic_add_f32 v6, v120, s[8:9]                     // 000000007748: DD348000 00087806
	global_atomic_add_f32 v6, v124, s[8:9] offset:256          // 000000007750: DD348100 00087C06
	s_mov_b64 exec, s[36:37]                                   // 000000007758: BEFE0124
	v_mov_b32_e32 v6, v55                                      // 00000000775C: 7E0C0337
	s_mov_b64 s[60:61], 0                                      // 000000007760: BEBC0180
	v_readlane_b32 s82, v3, 10                                 // 000000007764: D2890052 00011503
	s_and_b32 s82, s82, 0xffffff                               // 00000000776C: 8652FF52 00FFFFFF
	s_cmp_lt_u32 s82, s66                                      // 000000007774: BF0A4252
	s_cselect_b32 s20, s36, s60                                // 000000007778: 85143C24
	v_readlane_b32 s82, v3, 11                                 // 00000000777C: D2890052 00011703
	s_and_b32 s82, s82, 0xffffff                               // 000000007784: 8652FF52 00FFFFFF
	s_cmp_lt_u32 s82, s66                                      // 00000000778C: BF0A4252
	s_cselect_b32 s21, s36, s60                                // 000000007790: 85153C24
	s_mov_b64 exec, s[20:21]                                   // 000000007794: BEFE0114
	global_atomic_add_f32 v6, v121, s[8:9]                     // 000000007798: DD348000 00087906
	global_atomic_add_f32 v6, v125, s[8:9] offset:256          // 0000000077A0: DD348100 00087D06
	s_mov_b64 exec, s[36:37]                                   // 0000000077A8: BEFE0124
	v_mov_b32_e32 v6, v56                                      // 0000000077AC: 7E0C0338
	s_mov_b64 s[60:61], 0                                      // 0000000077B0: BEBC0180
	v_readlane_b32 s82, v3, 12                                 // 0000000077B4: D2890052 00011903
	s_and_b32 s82, s82, 0xffffff                               // 0000000077BC: 8652FF52 00FFFFFF
	s_cmp_lt_u32 s82, s66                                      // 0000000077C4: BF0A4252
	s_cselect_b32 s20, s36, s60                                // 0000000077C8: 85143C24
	v_readlane_b32 s82, v3, 13                                 // 0000000077CC: D2890052 00011B03
	s_and_b32 s82, s82, 0xffffff                               // 0000000077D4: 8652FF52 00FFFFFF
	s_cmp_lt_u32 s82, s66                                      // 0000000077DC: BF0A4252
	s_cselect_b32 s21, s36, s60                                // 0000000077E0: 85153C24
	s_mov_b64 exec, s[20:21]                                   // 0000000077E4: BEFE0114
	global_atomic_add_f32 v6, v128, s[8:9]                     // 0000000077E8: DD348000 00088006
	global_atomic_add_f32 v6, v132, s[8:9] offset:256          // 0000000077F0: DD348100 00088406
	s_mov_b64 exec, s[36:37]                                   // 0000000077F8: BEFE0124
	v_mov_b32_e32 v6, v57                                      // 0000000077FC: 7E0C0339
	s_mov_b64 s[60:61], 0                                      // 000000007800: BEBC0180
	v_readlane_b32 s82, v3, 14                                 // 000000007804: D2890052 00011D03
	s_and_b32 s82, s82, 0xffffff                               // 00000000780C: 8652FF52 00FFFFFF
	s_cmp_lt_u32 s82, s66                                      // 000000007814: BF0A4252
	s_cselect_b32 s20, s36, s60                                // 000000007818: 85143C24
	v_readlane_b32 s82, v3, 15                                 // 00000000781C: D2890052 00011F03
	s_and_b32 s82, s82, 0xffffff                               // 000000007824: 8652FF52 00FFFFFF
	s_cmp_lt_u32 s82, s66                                      // 00000000782C: BF0A4252
	s_cselect_b32 s21, s36, s60                                // 000000007830: 85153C24
	s_mov_b64 exec, s[20:21]                                   // 000000007834: BEFE0114
	global_atomic_add_f32 v6, v129, s[8:9]                     // 000000007838: DD348000 00088106
	global_atomic_add_f32 v6, v133, s[8:9] offset:256          // 000000007840: DD348100 00088506
	s_mov_b64 exec, s[36:37]                                   // 000000007848: BEFE0124
	v_mov_b32_e32 v6, v58                                      // 00000000784C: 7E0C033A
	s_mov_b64 s[60:61], 0                                      // 000000007850: BEBC0180
	v_readlane_b32 s82, v3, 16                                 // 000000007854: D2890052 00012103
	s_and_b32 s82, s82, 0xffffff                               // 00000000785C: 8652FF52 00FFFFFF
	s_cmp_lt_u32 s82, s66                                      // 000000007864: BF0A4252
	s_cselect_b32 s20, s36, s60                                // 000000007868: 85143C24
	v_readlane_b32 s82, v3, 17                                 // 00000000786C: D2890052 00012303
	s_and_b32 s82, s82, 0xffffff                               // 000000007874: 8652FF52 00FFFFFF
	s_cmp_lt_u32 s82, s66                                      // 00000000787C: BF0A4252
	s_cselect_b32 s21, s36, s60                                // 000000007880: 85153C24
	s_mov_b64 exec, s[20:21]                                   // 000000007884: BEFE0114
	global_atomic_add_f32 v6, v136, s[8:9]                     // 000000007888: DD348000 00088806
	global_atomic_add_f32 v6, v140, s[8:9] offset:256          // 000000007890: DD348100 00088C06
	s_mov_b64 exec, s[36:37]                                   // 000000007898: BEFE0124
	v_mov_b32_e32 v6, v59                                      // 00000000789C: 7E0C033B
	s_mov_b64 s[60:61], 0                                      // 0000000078A0: BEBC0180
	v_readlane_b32 s82, v3, 18                                 // 0000000078A4: D2890052 00012503
	s_and_b32 s82, s82, 0xffffff                               // 0000000078AC: 8652FF52 00FFFFFF
	s_cmp_lt_u32 s82, s66                                      // 0000000078B4: BF0A4252
	s_cselect_b32 s20, s36, s60                                // 0000000078B8: 85143C24
	v_readlane_b32 s82, v3, 19                                 // 0000000078BC: D2890052 00012703
	s_and_b32 s82, s82, 0xffffff                               // 0000000078C4: 8652FF52 00FFFFFF
	s_cmp_lt_u32 s82, s66                                      // 0000000078CC: BF0A4252
	s_cselect_b32 s21, s36, s60                                // 0000000078D0: 85153C24
	s_mov_b64 exec, s[20:21]                                   // 0000000078D4: BEFE0114
	global_atomic_add_f32 v6, v137, s[8:9]                     // 0000000078D8: DD348000 00088906
	global_atomic_add_f32 v6, v141, s[8:9] offset:256          // 0000000078E0: DD348100 00088D06
	s_mov_b64 exec, s[36:37]                                   // 0000000078E8: BEFE0124
	ds_write_b64 v20, v[106:107]                               // 0000000078EC: D89A0000 00006A14
	ds_write_b64 v20, v[110:111] offset:4352                   // 0000000078F4: D89A1100 00006E14
	ds_write_b64 v20, v[114:115] offset:8704                   // 0000000078FC: D89A2200 00007214
	ds_write_b64 v20, v[118:119] offset:13056                  // 000000007904: D89A3300 00007614
	ds_write_b64 v20, v[122:123] offset:17408                  // 00000000790C: D89A4400 00007A14
	ds_write_b64 v20, v[126:127] offset:2176                   // 000000007914: D89A0880 00007E14
	ds_write_b64 v20, v[130:131] offset:6528                   // 00000000791C: D89A1980 00008214
	ds_write_b64 v20, v[134:135] offset:10880                  // 000000007924: D89A2A80 00008614
	ds_write_b64 v20, v[138:139] offset:15232                  // 00000000792C: D89A3B80 00008A14
	ds_write_b64 v20, v[142:143] offset:19584                  // 000000007934: D89A4C80 00008E14
	s_waitcnt lgkmcnt(0)                                       // 00000000793C: BF8CC07F
	s_barrier                                                  // 000000007940: BF8A0000
	ds_read_b32 v106, v21                                      // 000000007944: D86C0000 6A000015
	ds_read_b32 v107, v21 offset:64                            // 00000000794C: D86C0040 6B000015
	ds_read_b32 v110, v21 offset:2176                          // 000000007954: D86C0880 6E000015
	ds_read_b32 v111, v21 offset:2240                          // 00000000795C: D86C08C0 6F000015
	ds_read_b32 v114, v21 offset:4352                          // 000000007964: D86C1100 72000015
	ds_read_b32 v115, v21 offset:4416                          // 00000000796C: D86C1140 73000015
	ds_read_b32 v118, v21 offset:6528                          // 000000007974: D86C1980 76000015
	ds_read_b32 v119, v21 offset:6592                          // 00000000797C: D86C19C0 77000015
	ds_read_b32 v122, v21 offset:8704                          // 000000007984: D86C2200 7A000015
	ds_read_b32 v123, v21 offset:8768                          // 00000000798C: D86C2240 7B000015
	ds_read_b32 v126, v21 offset:10880                         // 000000007994: D86C2A80 7E000015
	ds_read_b32 v127, v21 offset:10944                         // 00000000799C: D86C2AC0 7F000015
	ds_read_b32 v130, v21 offset:13056                         // 0000000079A4: D86C3300 82000015
	ds_read_b32 v131, v21 offset:13120                         // 0000000079AC: D86C3340 83000015
	ds_read_b32 v134, v21 offset:15232                         // 0000000079B4: D86C3B80 86000015
	ds_read_b32 v135, v21 offset:15296                         // 0000000079BC: D86C3BC0 87000015
	ds_read_b32 v138, v21 offset:17408                         // 0000000079C4: D86C4400 8A000015
	ds_read_b32 v139, v21 offset:17472                         // 0000000079CC: D86C4440 8B000015
	ds_read_b32 v142, v21 offset:19584                         // 0000000079D4: D86C4C80 8E000015
	ds_read_b32 v143, v21 offset:19648                         // 0000000079DC: D86C4CC0 8F000015
	s_waitcnt lgkmcnt(0)                                       // 0000000079E4: BF8CC07F
	v_mov_b32_e32 v7, 0                                        // 0000000079E8: 7E0E0280
	s_mov_b64 exec, s[36:37]                                   // 0000000079EC: BEFE0124
	v_mov_b32_e32 v6, v50                                      // 0000000079F0: 7E0C0332
	s_mov_b64 s[60:61], 0                                      // 0000000079F4: BEBC0180
	v_readlane_b32 s82, v3, 0                                  // 0000000079F8: D2890052 00010103
	s_and_b32 s82, s82, 0xffffff                               // 000000007A00: 8652FF52 00FFFFFF
	s_cmp_lt_u32 s82, s66                                      // 000000007A08: BF0A4252
	s_cselect_b32 s20, s36, s60                                // 000000007A0C: 85143C24
	v_readlane_b32 s82, v3, 1                                  // 000000007A10: D2890052 00010303
	s_and_b32 s82, s82, 0xffffff                               // 000000007A18: 8652FF52 00FFFFFF
	s_cmp_lt_u32 s82, s66                                      // 000000007A20: BF0A4252
	s_cselect_b32 s21, s36, s60                                // 000000007A24: 85153C24
	s_mov_b64 exec, s[20:21]                                   // 000000007A28: BEFE0114
	global_atomic_add_f32 v6, v106, s[8:9] offset:8            // 000000007A2C: DD348008 00086A06
	global_atomic_add_f32 v6, v110, s[8:9] offset:264          // 000000007A34: DD348108 00086E06
	s_mov_b64 exec, s[36:37]                                   // 000000007A3C: BEFE0124
	v_mov_b32_e32 v6, v51                                      // 000000007A40: 7E0C0333
	s_mov_b64 s[60:61], 0                                      // 000000007A44: BEBC0180
	v_readlane_b32 s82, v3, 2                                  // 000000007A48: D2890052 00010503
	s_and_b32 s82, s82, 0xffffff                               // 000000007A50: 8652FF52 00FFFFFF
	s_cmp_lt_u32 s82, s66                                      // 000000007A58: BF0A4252
	s_cselect_b32 s20, s36, s60                                // 000000007A5C: 85143C24
	v_readlane_b32 s82, v3, 3                                  // 000000007A60: D2890052 00010703
	s_and_b32 s82, s82, 0xffffff                               // 000000007A68: 8652FF52 00FFFFFF
	s_cmp_lt_u32 s82, s66                                      // 000000007A70: BF0A4252
	s_cselect_b32 s21, s36, s60                                // 000000007A74: 85153C24
	s_mov_b64 exec, s[20:21]                                   // 000000007A78: BEFE0114
	global_atomic_add_f32 v6, v107, s[8:9] offset:8            // 000000007A7C: DD348008 00086B06
	global_atomic_add_f32 v6, v111, s[8:9] offset:264          // 000000007A84: DD348108 00086F06
	s_mov_b64 exec, s[36:37]                                   // 000000007A8C: BEFE0124
	v_mov_b32_e32 v6, v52                                      // 000000007A90: 7E0C0334
	s_mov_b64 s[60:61], 0                                      // 000000007A94: BEBC0180
	v_readlane_b32 s82, v3, 4                                  // 000000007A98: D2890052 00010903
	s_and_b32 s82, s82, 0xffffff                               // 000000007AA0: 8652FF52 00FFFFFF
	s_cmp_lt_u32 s82, s66                                      // 000000007AA8: BF0A4252
	s_cselect_b32 s20, s36, s60                                // 000000007AAC: 85143C24
	v_readlane_b32 s82, v3, 5                                  // 000000007AB0: D2890052 00010B03
	s_and_b32 s82, s82, 0xffffff                               // 000000007AB8: 8652FF52 00FFFFFF
	s_cmp_lt_u32 s82, s66                                      // 000000007AC0: BF0A4252
	s_cselect_b32 s21, s36, s60                                // 000000007AC4: 85153C24
	s_mov_b64 exec, s[20:21]                                   // 000000007AC8: BEFE0114
	global_atomic_add_f32 v6, v114, s[8:9] offset:8            // 000000007ACC: DD348008 00087206
	global_atomic_add_f32 v6, v118, s[8:9] offset:264          // 000000007AD4: DD348108 00087606
	s_mov_b64 exec, s[36:37]                                   // 000000007ADC: BEFE0124
	v_mov_b32_e32 v6, v53                                      // 000000007AE0: 7E0C0335
	s_mov_b64 s[60:61], 0                                      // 000000007AE4: BEBC0180
	v_readlane_b32 s82, v3, 6                                  // 000000007AE8: D2890052 00010D03
	s_and_b32 s82, s82, 0xffffff                               // 000000007AF0: 8652FF52 00FFFFFF
	s_cmp_lt_u32 s82, s66                                      // 000000007AF8: BF0A4252
	s_cselect_b32 s20, s36, s60                                // 000000007AFC: 85143C24
	v_readlane_b32 s82, v3, 7                                  // 000000007B00: D2890052 00010F03
	s_and_b32 s82, s82, 0xffffff                               // 000000007B08: 8652FF52 00FFFFFF
	s_cmp_lt_u32 s82, s66                                      // 000000007B10: BF0A4252
	s_cselect_b32 s21, s36, s60                                // 000000007B14: 85153C24
	s_mov_b64 exec, s[20:21]                                   // 000000007B18: BEFE0114
	global_atomic_add_f32 v6, v115, s[8:9] offset:8            // 000000007B1C: DD348008 00087306
	global_atomic_add_f32 v6, v119, s[8:9] offset:264          // 000000007B24: DD348108 00087706
	s_mov_b64 exec, s[36:37]                                   // 000000007B2C: BEFE0124
	v_mov_b32_e32 v6, v54                                      // 000000007B30: 7E0C0336
	s_mov_b64 s[60:61], 0                                      // 000000007B34: BEBC0180
	v_readlane_b32 s82, v3, 8                                  // 000000007B38: D2890052 00011103
	s_and_b32 s82, s82, 0xffffff                               // 000000007B40: 8652FF52 00FFFFFF
	s_cmp_lt_u32 s82, s66                                      // 000000007B48: BF0A4252
	s_cselect_b32 s20, s36, s60                                // 000000007B4C: 85143C24
	v_readlane_b32 s82, v3, 9                                  // 000000007B50: D2890052 00011303
	s_and_b32 s82, s82, 0xffffff                               // 000000007B58: 8652FF52 00FFFFFF
	s_cmp_lt_u32 s82, s66                                      // 000000007B60: BF0A4252
	s_cselect_b32 s21, s36, s60                                // 000000007B64: 85153C24
	s_mov_b64 exec, s[20:21]                                   // 000000007B68: BEFE0114
	global_atomic_add_f32 v6, v122, s[8:9] offset:8            // 000000007B6C: DD348008 00087A06
	global_atomic_add_f32 v6, v126, s[8:9] offset:264          // 000000007B74: DD348108 00087E06
	s_mov_b64 exec, s[36:37]                                   // 000000007B7C: BEFE0124
	v_mov_b32_e32 v6, v55                                      // 000000007B80: 7E0C0337
	s_mov_b64 s[60:61], 0                                      // 000000007B84: BEBC0180
	v_readlane_b32 s82, v3, 10                                 // 000000007B88: D2890052 00011503
	s_and_b32 s82, s82, 0xffffff                               // 000000007B90: 8652FF52 00FFFFFF
	s_cmp_lt_u32 s82, s66                                      // 000000007B98: BF0A4252
	s_cselect_b32 s20, s36, s60                                // 000000007B9C: 85143C24
	v_readlane_b32 s82, v3, 11                                 // 000000007BA0: D2890052 00011703
	s_and_b32 s82, s82, 0xffffff                               // 000000007BA8: 8652FF52 00FFFFFF
	s_cmp_lt_u32 s82, s66                                      // 000000007BB0: BF0A4252
	s_cselect_b32 s21, s36, s60                                // 000000007BB4: 85153C24
	s_mov_b64 exec, s[20:21]                                   // 000000007BB8: BEFE0114
	global_atomic_add_f32 v6, v123, s[8:9] offset:8            // 000000007BBC: DD348008 00087B06
	global_atomic_add_f32 v6, v127, s[8:9] offset:264          // 000000007BC4: DD348108 00087F06
	s_mov_b64 exec, s[36:37]                                   // 000000007BCC: BEFE0124
	v_mov_b32_e32 v6, v56                                      // 000000007BD0: 7E0C0338
	s_mov_b64 s[60:61], 0                                      // 000000007BD4: BEBC0180
	v_readlane_b32 s82, v3, 12                                 // 000000007BD8: D2890052 00011903
	s_and_b32 s82, s82, 0xffffff                               // 000000007BE0: 8652FF52 00FFFFFF
	s_cmp_lt_u32 s82, s66                                      // 000000007BE8: BF0A4252
	s_cselect_b32 s20, s36, s60                                // 000000007BEC: 85143C24
	v_readlane_b32 s82, v3, 13                                 // 000000007BF0: D2890052 00011B03
	s_and_b32 s82, s82, 0xffffff                               // 000000007BF8: 8652FF52 00FFFFFF
	s_cmp_lt_u32 s82, s66                                      // 000000007C00: BF0A4252
	s_cselect_b32 s21, s36, s60                                // 000000007C04: 85153C24
	s_mov_b64 exec, s[20:21]                                   // 000000007C08: BEFE0114
	global_atomic_add_f32 v6, v130, s[8:9] offset:8            // 000000007C0C: DD348008 00088206
	global_atomic_add_f32 v6, v134, s[8:9] offset:264          // 000000007C14: DD348108 00088606
	s_mov_b64 exec, s[36:37]                                   // 000000007C1C: BEFE0124
	v_mov_b32_e32 v6, v57                                      // 000000007C20: 7E0C0339
	s_mov_b64 s[60:61], 0                                      // 000000007C24: BEBC0180
	v_readlane_b32 s82, v3, 14                                 // 000000007C28: D2890052 00011D03
	s_and_b32 s82, s82, 0xffffff                               // 000000007C30: 8652FF52 00FFFFFF
	s_cmp_lt_u32 s82, s66                                      // 000000007C38: BF0A4252
	s_cselect_b32 s20, s36, s60                                // 000000007C3C: 85143C24
	v_readlane_b32 s82, v3, 15                                 // 000000007C40: D2890052 00011F03
	s_and_b32 s82, s82, 0xffffff                               // 000000007C48: 8652FF52 00FFFFFF
	s_cmp_lt_u32 s82, s66                                      // 000000007C50: BF0A4252
	s_cselect_b32 s21, s36, s60                                // 000000007C54: 85153C24
	s_mov_b64 exec, s[20:21]                                   // 000000007C58: BEFE0114
	global_atomic_add_f32 v6, v131, s[8:9] offset:8            // 000000007C5C: DD348008 00088306
	global_atomic_add_f32 v6, v135, s[8:9] offset:264          // 000000007C64: DD348108 00088706
	s_mov_b64 exec, s[36:37]                                   // 000000007C6C: BEFE0124
	v_mov_b32_e32 v6, v58                                      // 000000007C70: 7E0C033A
	s_mov_b64 s[60:61], 0                                      // 000000007C74: BEBC0180
	v_readlane_b32 s82, v3, 16                                 // 000000007C78: D2890052 00012103
	s_and_b32 s82, s82, 0xffffff                               // 000000007C80: 8652FF52 00FFFFFF
	s_cmp_lt_u32 s82, s66                                      // 000000007C88: BF0A4252
	s_cselect_b32 s20, s36, s60                                // 000000007C8C: 85143C24
	v_readlane_b32 s82, v3, 17                                 // 000000007C90: D2890052 00012303
	s_and_b32 s82, s82, 0xffffff                               // 000000007C98: 8652FF52 00FFFFFF
	s_cmp_lt_u32 s82, s66                                      // 000000007CA0: BF0A4252
	s_cselect_b32 s21, s36, s60                                // 000000007CA4: 85153C24
	s_mov_b64 exec, s[20:21]                                   // 000000007CA8: BEFE0114
	global_atomic_add_f32 v6, v138, s[8:9] offset:8            // 000000007CAC: DD348008 00088A06
	global_atomic_add_f32 v6, v142, s[8:9] offset:264          // 000000007CB4: DD348108 00088E06
	s_mov_b64 exec, s[36:37]                                   // 000000007CBC: BEFE0124
	v_mov_b32_e32 v6, v59                                      // 000000007CC0: 7E0C033B
	s_mov_b64 s[60:61], 0                                      // 000000007CC4: BEBC0180
	v_readlane_b32 s82, v3, 18                                 // 000000007CC8: D2890052 00012503
	s_and_b32 s82, s82, 0xffffff                               // 000000007CD0: 8652FF52 00FFFFFF
	s_cmp_lt_u32 s82, s66                                      // 000000007CD8: BF0A4252
	s_cselect_b32 s20, s36, s60                                // 000000007CDC: 85143C24
	v_readlane_b32 s82, v3, 19                                 // 000000007CE0: D2890052 00012703
	s_and_b32 s82, s82, 0xffffff                               // 000000007CE8: 8652FF52 00FFFFFF
	s_cmp_lt_u32 s82, s66                                      // 000000007CF0: BF0A4252
	s_cselect_b32 s21, s36, s60                                // 000000007CF4: 85153C24
	s_mov_b64 exec, s[20:21]                                   // 000000007CF8: BEFE0114
	global_atomic_add_f32 v6, v139, s[8:9] offset:8            // 000000007CFC: DD348008 00088B06
	global_atomic_add_f32 v6, v143, s[8:9] offset:264          // 000000007D04: DD348108 00088F06
	s_mov_b64 exec, s[36:37]                                   // 000000007D0C: BEFE0124
	s_branch label_26D6                                        // 000000007D10: BF82120E

0000000000007d14 <label_14C8>:
	s_waitcnt vmcnt(14) lgkmcnt(0)                             // 000000007D14: BF8C007E
	v_mfma_f32_16x16x32_fp8_fp8 v[64:67], a[80:81], a[0:1], v[64:67]// 000000007D18: D3F30040 1D020150
	buffer_load_dwordx4 a[112:115], v60, s[24:27], 0 offen     // 000000007D20: E05C1000 8086703C
	v_mfma_f32_16x16x32_fp8_fp8 v[64:67], a[82:83], a[2:3], v[64:67]// 000000007D28: D3F30040 1D020552
	v_mfma_f32_16x16x32_fp8_fp8 v[64:67], a[84:85], a[4:5], v[64:67]// 000000007D30: D3F30040 1D020954
	v_mfma_f32_16x16x32_fp8_fp8 v[64:67], a[86:87], a[6:7], v[64:67]// 000000007D38: D3F30040 1D020D56
	v_mfma_f32_16x16x32_fp8_fp8 v[84:87], a[88:89], a[0:1], v[84:87]// 000000007D40: D3F30054 1D520158
	buffer_load_dwordx4 a[116:119], v60, s[24:27], 0 offen offset:1024// 000000007D48: E05C1400 8086743C
	v_mfma_f32_16x16x32_fp8_fp8 v[84:87], a[90:91], a[2:3], v[84:87]// 000000007D50: D3F30054 1D52055A
	v_mfma_f32_16x16x32_fp8_fp8 v[84:87], a[92:93], a[4:5], v[84:87]// 000000007D58: D3F30054 1D52095C
	v_mfma_f32_16x16x32_fp8_fp8 v[84:87], a[94:95], a[6:7], v[84:87]// 000000007D60: D3F30054 1D520D5E
	v_mfma_f32_16x16x32_fp8_fp8 v[68:71], a[80:81], a[8:9], v[68:71]// 000000007D68: D3F30044 1D121150
	buffer_load_dwordx4 a[120:123], v61, s[24:27], 0 offen     // 000000007D70: E05C1000 8086783D
	v_mfma_f32_16x16x32_fp8_fp8 v[68:71], a[82:83], a[10:11], v[68:71]// 000000007D78: D3F30044 1D121552
	v_mfma_f32_16x16x32_fp8_fp8 v[68:71], a[84:85], a[12:13], v[68:71]// 000000007D80: D3F30044 1D121954
	v_mfma_f32_16x16x32_fp8_fp8 v[68:71], a[86:87], a[14:15], v[68:71]// 000000007D88: D3F30044 1D121D56
	v_mfma_f32_16x16x32_fp8_fp8 v[88:91], a[88:89], a[8:9], v[88:91]// 000000007D90: D3F30058 1D621158
	buffer_load_dwordx4 a[124:127], v61, s[24:27], 0 offen offset:1024// 000000007D98: E05C1400 80867C3D
	buffer_load_dword v50, s[20:23], 0 offen lds               // 000000007DA0: E0511000 80050032
	s_add_u32 m0, 0x100, s50                                   // 000000007DA8: 807C32FF 00000100
	v_mfma_f32_16x16x32_fp8_fp8 v[88:91], a[90:91], a[10:11], v[88:91]// 000000007DB0: D3F30058 1D62155A
	v_mfma_f32_16x16x32_fp8_fp8 v[88:91], a[92:93], a[12:13], v[88:91]// 000000007DB8: D3F30058 1D62195C
	buffer_load_dword v51, s[20:23], 0 offen lds               // 000000007DC0: E0511000 80050033
	s_add_u32 m0, 0x200, s50                                   // 000000007DC8: 807C32FF 00000200
	v_mfma_f32_16x16x32_fp8_fp8 v[88:91], a[94:95], a[14:15], v[88:91]// 000000007DD0: D3F30058 1D621D5E
	v_mfma_f32_16x16x32_fp8_fp8 v[72:75], a[80:81], a[16:17], v[72:75]// 000000007DD8: D3F30048 1D222150
	buffer_load_dword v52, s[20:23], 0 offen lds               // 000000007DE0: E0511000 80050034
	s_add_u32 m0, 0x300, s50                                   // 000000007DE8: 807C32FF 00000300
	v_mfma_f32_16x16x32_fp8_fp8 v[72:75], a[82:83], a[18:19], v[72:75]// 000000007DF0: D3F30048 1D222552
	v_mfma_f32_16x16x32_fp8_fp8 v[72:75], a[84:85], a[20:21], v[72:75]// 000000007DF8: D3F30048 1D222954
	buffer_load_dword v53, s[20:23], 0 offen lds               // 000000007E00: E0511000 80050035
	s_add_u32 m0, 0x400, s50                                   // 000000007E08: 807C32FF 00000400
	v_mfma_f32_16x16x32_fp8_fp8 v[72:75], a[86:87], a[22:23], v[72:75]// 000000007E10: D3F30048 1D222D56
	v_mfma_f32_16x16x32_fp8_fp8 v[92:95], a[88:89], a[16:17], v[92:95]// 000000007E18: D3F3005C 1D722158
	buffer_load_dword v54, s[20:23], 0 offen lds               // 000000007E20: E0511000 80050036
	s_add_u32 m0, 0x500, s50                                   // 000000007E28: 807C32FF 00000500
	v_mfma_f32_16x16x32_fp8_fp8 v[92:95], a[90:91], a[18:19], v[92:95]// 000000007E30: D3F3005C 1D72255A
	v_mfma_f32_16x16x32_fp8_fp8 v[92:95], a[92:93], a[20:21], v[92:95]// 000000007E38: D3F3005C 1D72295C
	buffer_load_dword v55, s[20:23], 0 offen lds               // 000000007E40: E0511000 80050037
	s_add_u32 m0, 0x600, s50                                   // 000000007E48: 807C32FF 00000600
	v_mfma_f32_16x16x32_fp8_fp8 v[92:95], a[94:95], a[22:23], v[92:95]// 000000007E50: D3F3005C 1D722D5E
	v_mfma_f32_16x16x32_fp8_fp8 v[76:79], a[80:81], a[24:25], v[76:79]// 000000007E58: D3F3004C 1D323150
	buffer_load_dword v56, s[20:23], 0 offen lds               // 000000007E60: E0511000 80050038
	s_add_u32 m0, 0x700, s50                                   // 000000007E68: 807C32FF 00000700
	v_mfma_f32_16x16x32_fp8_fp8 v[76:79], a[82:83], a[26:27], v[76:79]// 000000007E70: D3F3004C 1D323552
	v_mfma_f32_16x16x32_fp8_fp8 v[76:79], a[84:85], a[28:29], v[76:79]// 000000007E78: D3F3004C 1D323954
	buffer_load_dword v57, s[20:23], 0 offen lds               // 000000007E80: E0511000 80050039
	s_add_u32 m0, 0x800, s50                                   // 000000007E88: 807C32FF 00000800
	v_mfma_f32_16x16x32_fp8_fp8 v[76:79], a[86:87], a[30:31], v[76:79]// 000000007E90: D3F3004C 1D323D56
	v_mfma_f32_16x16x32_fp8_fp8 v[96:99], a[88:89], a[24:25], v[96:99]// 000000007E98: D3F30060 1D823158
	buffer_load_dword v58, s[20:23], 0 offen lds               // 000000007EA0: E0511000 8005003A
	s_add_u32 m0, 0x900, s50                                   // 000000007EA8: 807C32FF 00000900
	v_mfma_f32_16x16x32_fp8_fp8 v[96:99], a[90:91], a[26:27], v[96:99]// 000000007EB0: D3F30060 1D82355A
	v_mfma_f32_16x16x32_fp8_fp8 v[96:99], a[92:93], a[28:29], v[96:99]// 000000007EB8: D3F30060 1D82395C
	buffer_load_dword v59, s[20:23], 0 offen lds               // 000000007EC0: E0511000 8005003B
	s_add_u32 m0, 0, s48                                       // 000000007EC8: 807C3080
	v_mfma_f32_16x16x32_fp8_fp8 v[96:99], a[94:95], a[30:31], v[96:99]// 000000007ECC: D3F30060 1D823D5E
	v_mfma_f32_16x16x32_fp8_fp8 v[80:83], a[80:81], a[32:33], v[80:83]// 000000007ED4: D3F30050 1D424150
	v_mfma_f32_16x16x32_fp8_fp8 v[80:83], a[82:83], a[34:35], v[80:83]// 000000007EDC: D3F30050 1D424552
	v_mfma_f32_16x16x32_fp8_fp8 v[80:83], a[84:85], a[36:37], v[80:83]// 000000007EE4: D3F30050 1D424954
	v_mfma_f32_16x16x32_fp8_fp8 v[80:83], a[86:87], a[38:39], v[80:83]// 000000007EEC: D3F30050 1D424D56
	v_mfma_f32_16x16x32_fp8_fp8 v[100:103], a[88:89], a[32:33], v[100:103]// 000000007EF4: D3F30064 1D924158
	v_mfma_f32_16x16x32_fp8_fp8 v[100:103], a[90:91], a[34:35], v[100:103]// 000000007EFC: D3F30064 1D92455A
	v_mfma_f32_16x16x32_fp8_fp8 v[100:103], a[92:93], a[36:37], v[100:103]// 000000007F04: D3F30064 1D92495C
	v_mfma_f32_16x16x32_fp8_fp8 v[100:103], a[94:95], a[38:39], v[100:103]// 000000007F0C: D3F30064 1D924D5E
	s_waitcnt vmcnt(14)                                        // 000000007F14: BF8C0F7E
	s_barrier                                                  // 000000007F18: BF8A0000
	v_mfma_f32_16x16x32_fp8_fp8 v[104:107], a[96:97], a[0:1], v[104:107]// 000000007F1C: D3F30068 1DA20160
	buffer_load_dwordx4 a[80:83], v60, s[84:87], 0 offen       // 000000007F24: E05C1000 8095503C
	v_mfma_f32_16x16x32_fp8_fp8 v[104:107], a[98:99], a[2:3], v[104:107]// 000000007F2C: D3F30068 1DA20562
	v_mfma_f32_16x16x32_fp8_fp8 v[104:107], a[100:101], a[4:5], v[104:107]// 000000007F34: D3F30068 1DA20964
	ds_read_b128 a[40:43], v2 offset:10368                     // 000000007F3C: DBFE2880 28000002
	ds_read_b128 a[44:47], v2 offset:10432                     // 000000007F44: DBFE28C0 2C000002
	v_mfma_f32_16x16x32_fp8_fp8 v[104:107], a[102:103], a[6:7], v[104:107]// 000000007F4C: D3F30068 1DA20D66
	v_mfma_f32_16x16x32_fp8_fp8 v[124:127], a[104:105], a[0:1], v[124:127]// 000000007F54: D3F3007C 1DF20168
	buffer_load_dwordx4 a[84:87], v60, s[84:87], 0 offen offset:1024// 000000007F5C: E05C1400 8095543C
	v_mfma_f32_16x16x32_fp8_fp8 v[124:127], a[106:107], a[2:3], v[124:127]// 000000007F64: D3F3007C 1DF2056A
	v_mfma_f32_16x16x32_fp8_fp8 v[124:127], a[108:109], a[4:5], v[124:127]// 000000007F6C: D3F3007C 1DF2096C
	ds_read_b128 a[48:51], v2 offset:10880                     // 000000007F74: DBFE2A80 30000002
	ds_read_b128 a[52:55], v2 offset:10944                     // 000000007F7C: DBFE2AC0 34000002
	v_mfma_f32_16x16x32_fp8_fp8 v[124:127], a[110:111], a[6:7], v[124:127]// 000000007F84: D3F3007C 1DF20D6E
	v_mfma_f32_16x16x32_fp8_fp8 v[108:111], a[96:97], a[8:9], v[108:111]// 000000007F8C: D3F3006C 1DB21160
	buffer_load_dwordx4 a[88:91], v61, s[84:87], 0 offen       // 000000007F94: E05C1000 8095583D
	v_mfma_f32_16x16x32_fp8_fp8 v[108:111], a[98:99], a[10:11], v[108:111]// 000000007F9C: D3F3006C 1DB21562
	v_mfma_f32_16x16x32_fp8_fp8 v[108:111], a[100:101], a[12:13], v[108:111]// 000000007FA4: D3F3006C 1DB21964
	ds_read_b128 a[56:59], v2 offset:11392                     // 000000007FAC: DBFE2C80 38000002
	ds_read_b128 a[60:63], v2 offset:11456                     // 000000007FB4: DBFE2CC0 3C000002
	v_mfma_f32_16x16x32_fp8_fp8 v[108:111], a[102:103], a[14:15], v[108:111]// 000000007FBC: D3F3006C 1DB21D66
	v_mfma_f32_16x16x32_fp8_fp8 v[128:131], a[104:105], a[8:9], v[128:131]// 000000007FC4: D3F30080 1E021168
	buffer_load_dwordx4 a[92:95], v61, s[84:87], 0 offen offset:1024// 000000007FCC: E05C1400 80955C3D
	v_mfma_f32_16x16x32_fp8_fp8 v[128:131], a[106:107], a[10:11], v[128:131]// 000000007FD4: D3F30080 1E02156A
	v_mfma_f32_16x16x32_fp8_fp8 v[128:131], a[108:109], a[12:13], v[128:131]// 000000007FDC: D3F30080 1E02196C
	ds_read_b128 a[64:67], v2 offset:11904                     // 000000007FE4: DBFE2E80 40000002
	ds_read_b128 a[68:71], v2 offset:11968                     // 000000007FEC: DBFE2EC0 44000002
	v_mfma_f32_16x16x32_fp8_fp8 v[128:131], a[110:111], a[14:15], v[128:131]// 000000007FF4: D3F30080 1E021D6E
	v_mfma_f32_16x16x32_fp8_fp8 v[112:115], a[96:97], a[16:17], v[112:115]// 000000007FFC: D3F30070 1DC22160
	v_mfma_f32_16x16x32_fp8_fp8 v[112:115], a[98:99], a[18:19], v[112:115]// 000000008004: D3F30070 1DC22562
	v_mfma_f32_16x16x32_fp8_fp8 v[112:115], a[100:101], a[20:21], v[112:115]// 00000000800C: D3F30070 1DC22964
	ds_read_b128 a[72:75], v2 offset:12416                     // 000000008014: DBFE3080 48000002
	ds_read_b128 a[76:79], v2 offset:12480                     // 00000000801C: DBFE30C0 4C000002
	v_mfma_f32_16x16x32_fp8_fp8 v[112:115], a[102:103], a[22:23], v[112:115]// 000000008024: D3F30070 1DC22D66
	v_mfma_f32_16x16x32_fp8_fp8 v[132:135], a[104:105], a[16:17], v[132:135]// 00000000802C: D3F30084 1E122168
	v_mfma_f32_16x16x32_fp8_fp8 v[132:135], a[106:107], a[18:19], v[132:135]// 000000008034: D3F30084 1E12256A
	v_mfma_f32_16x16x32_fp8_fp8 v[132:135], a[108:109], a[20:21], v[132:135]// 00000000803C: D3F30084 1E12296C
	v_mfma_f32_16x16x32_fp8_fp8 v[132:135], a[110:111], a[22:23], v[132:135]// 000000008044: D3F30084 1E122D6E
	v_mfma_f32_16x16x32_fp8_fp8 v[116:119], a[96:97], a[24:25], v[116:119]// 00000000804C: D3F30074 1DD23160
	v_mfma_f32_16x16x32_fp8_fp8 v[116:119], a[98:99], a[26:27], v[116:119]// 000000008054: D3F30074 1DD23562
	v_mfma_f32_16x16x32_fp8_fp8 v[116:119], a[100:101], a[28:29], v[116:119]// 00000000805C: D3F30074 1DD23964
	v_mfma_f32_16x16x32_fp8_fp8 v[116:119], a[102:103], a[30:31], v[116:119]// 000000008064: D3F30074 1DD23D66
	v_mfma_f32_16x16x32_fp8_fp8 v[136:139], a[104:105], a[24:25], v[136:139]// 00000000806C: D3F30088 1E223168
	v_mfma_f32_16x16x32_fp8_fp8 v[136:139], a[106:107], a[26:27], v[136:139]// 000000008074: D3F30088 1E22356A
	v_mfma_f32_16x16x32_fp8_fp8 v[136:139], a[108:109], a[28:29], v[136:139]// 00000000807C: D3F30088 1E22396C
	v_mfma_f32_16x16x32_fp8_fp8 v[136:139], a[110:111], a[30:31], v[136:139]// 000000008084: D3F30088 1E223D6E
	v_mfma_f32_16x16x32_fp8_fp8 v[120:123], a[96:97], a[32:33], v[120:123]// 00000000808C: D3F30078 1DE24160
	s_add_u32 s60, 0x180, s80                                  // 000000008094: 803C50FF 00000180
	s_cmp_lt_u32 s60, s81                                      // 00000000809C: BF0A513C
	s_cselect_b32 s57, s57, 0                                  // 0000000080A0: 85398039
	v_mfma_f32_16x16x32_fp8_fp8 v[120:123], a[98:99], a[34:35], v[120:123]// 0000000080A4: D3F30078 1DE24562
	s_add_u32 s60, 0x100, s80                                  // 0000000080AC: 803C50FF 00000100
	s_cmp_lt_u32 s60, s81                                      // 0000000080B4: BF0A513C
	s_cselect_b32 s58, s58, 0                                  // 0000000080B8: 853A803A
	v_mfma_f32_16x16x32_fp8_fp8 v[120:123], a[100:101], a[36:37], v[120:123]// 0000000080BC: D3F30078 1DE24964
	s_add_u32 s60, 0x100, s80                                  // 0000000080C4: 803C50FF 00000100
	s_cmp_lt_u32 s60, s81                                      // 0000000080CC: BF0A513C
	s_cselect_b32 s83, s83, 0                                  // 0000000080D0: 85538053
	v_mfma_f32_16x16x32_fp8_fp8 v[120:123], a[102:103], a[38:39], v[120:123]// 0000000080D4: D3F30078 1DE24D66
	s_add_u32 s24, s58, s24                                    // 0000000080DC: 8018183A
	s_addc_u32 s25, 0, s25                                     // 0000000080E0: 82191980
	v_mfma_f32_16x16x32_fp8_fp8 v[140:143], a[104:105], a[32:33], v[140:143]// 0000000080E4: D3F3008C 1E324168
	s_add_u32 s20, s57, s20                                    // 0000000080EC: 80141439
	s_addc_u32 s21, 0, s21                                     // 0000000080F0: 82151580
	v_mfma_f32_16x16x32_fp8_fp8 v[140:143], a[106:107], a[34:35], v[140:143]// 0000000080F4: D3F3008C 1E32456A
	s_add_u32 s84, s83, s84                                    // 0000000080FC: 80545453
	s_addc_u32 s85, 0, s85                                     // 000000008100: 82555580
	v_mfma_f32_16x16x32_fp8_fp8 v[140:143], a[108:109], a[36:37], v[140:143]// 000000008104: D3F3008C 1E32496C
	v_mfma_f32_16x16x32_fp8_fp8 v[140:143], a[110:111], a[38:39], v[140:143]// 00000000810C: D3F3008C 1E324D6E
	s_addk_i32 s80, 0x80                                       // 000000008114: B7500080
	s_cmp_lt_i32 s80, s81                                      // 000000008118: BF045150
	s_cbranch_scc0 label_1ADB                                  // 00000000811C: BF840510
	s_waitcnt vmcnt(14) lgkmcnt(0)                             // 000000008120: BF8C007E
	v_mfma_f32_16x16x32_fp8_fp8 v[64:67], a[112:113], a[40:41], v[64:67]// 000000008124: D3F30040 1D025170
	buffer_load_dwordx4 a[96:99], v60, s[24:27], 0 offen       // 00000000812C: E05C1000 8086603C
	v_mfma_f32_16x16x32_fp8_fp8 v[64:67], a[114:115], a[42:43], v[64:67]// 000000008134: D3F30040 1D025572
	v_mfma_f32_16x16x32_fp8_fp8 v[64:67], a[116:117], a[44:45], v[64:67]// 00000000813C: D3F30040 1D025974
	v_mfma_f32_16x16x32_fp8_fp8 v[64:67], a[118:119], a[46:47], v[64:67]// 000000008144: D3F30040 1D025D76
	v_mfma_f32_16x16x32_fp8_fp8 v[84:87], a[120:121], a[40:41], v[84:87]// 00000000814C: D3F30054 1D525178
	buffer_load_dwordx4 a[100:103], v60, s[24:27], 0 offen offset:1024// 000000008154: E05C1400 8086643C
	v_mfma_f32_16x16x32_fp8_fp8 v[84:87], a[122:123], a[42:43], v[84:87]// 00000000815C: D3F30054 1D52557A
	v_mfma_f32_16x16x32_fp8_fp8 v[84:87], a[124:125], a[44:45], v[84:87]// 000000008164: D3F30054 1D52597C
	v_mfma_f32_16x16x32_fp8_fp8 v[84:87], a[126:127], a[46:47], v[84:87]// 00000000816C: D3F30054 1D525D7E
	v_mfma_f32_16x16x32_fp8_fp8 v[68:71], a[112:113], a[48:49], v[68:71]// 000000008174: D3F30044 1D126170
	buffer_load_dwordx4 a[104:107], v61, s[24:27], 0 offen     // 00000000817C: E05C1000 8086683D
	v_mfma_f32_16x16x32_fp8_fp8 v[68:71], a[114:115], a[50:51], v[68:71]// 000000008184: D3F30044 1D126572
	v_mfma_f32_16x16x32_fp8_fp8 v[68:71], a[116:117], a[52:53], v[68:71]// 00000000818C: D3F30044 1D126974
	v_mfma_f32_16x16x32_fp8_fp8 v[68:71], a[118:119], a[54:55], v[68:71]// 000000008194: D3F30044 1D126D76
	v_mfma_f32_16x16x32_fp8_fp8 v[88:91], a[120:121], a[48:49], v[88:91]// 00000000819C: D3F30058 1D626178
	buffer_load_dwordx4 a[108:111], v61, s[24:27], 0 offen offset:1024// 0000000081A4: E05C1400 80866C3D
	buffer_load_dword v50, s[20:23], 0 offen lds               // 0000000081AC: E0511000 80050032
	s_add_u32 m0, 0x100, s48                                   // 0000000081B4: 807C30FF 00000100
	v_mfma_f32_16x16x32_fp8_fp8 v[88:91], a[122:123], a[50:51], v[88:91]// 0000000081BC: D3F30058 1D62657A
	v_mfma_f32_16x16x32_fp8_fp8 v[88:91], a[124:125], a[52:53], v[88:91]// 0000000081C4: D3F30058 1D62697C
	buffer_load_dword v51, s[20:23], 0 offen lds               // 0000000081CC: E0511000 80050033
	s_add_u32 m0, 0x200, s48                                   // 0000000081D4: 807C30FF 00000200
	v_mfma_f32_16x16x32_fp8_fp8 v[88:91], a[126:127], a[54:55], v[88:91]// 0000000081DC: D3F30058 1D626D7E
	v_mfma_f32_16x16x32_fp8_fp8 v[72:75], a[112:113], a[56:57], v[72:75]// 0000000081E4: D3F30048 1D227170
	buffer_load_dword v52, s[20:23], 0 offen lds               // 0000000081EC: E0511000 80050034
	s_add_u32 m0, 0x300, s48                                   // 0000000081F4: 807C30FF 00000300
	v_mfma_f32_16x16x32_fp8_fp8 v[72:75], a[114:115], a[58:59], v[72:75]// 0000000081FC: D3F30048 1D227572
	v_mfma_f32_16x16x32_fp8_fp8 v[72:75], a[116:117], a[60:61], v[72:75]// 000000008204: D3F30048 1D227974
	buffer_load_dword v53, s[20:23], 0 offen lds               // 00000000820C: E0511000 80050035
	s_add_u32 m0, 0x400, s48                                   // 000000008214: 807C30FF 00000400
	v_mfma_f32_16x16x32_fp8_fp8 v[72:75], a[118:119], a[62:63], v[72:75]// 00000000821C: D3F30048 1D227D76
	v_mfma_f32_16x16x32_fp8_fp8 v[92:95], a[120:121], a[56:57], v[92:95]// 000000008224: D3F3005C 1D727178
	buffer_load_dword v54, s[20:23], 0 offen lds               // 00000000822C: E0511000 80050036
	s_add_u32 m0, 0x500, s48                                   // 000000008234: 807C30FF 00000500
	v_mfma_f32_16x16x32_fp8_fp8 v[92:95], a[122:123], a[58:59], v[92:95]// 00000000823C: D3F3005C 1D72757A
	v_mfma_f32_16x16x32_fp8_fp8 v[92:95], a[124:125], a[60:61], v[92:95]// 000000008244: D3F3005C 1D72797C
	buffer_load_dword v55, s[20:23], 0 offen lds               // 00000000824C: E0511000 80050037
	s_add_u32 m0, 0x600, s48                                   // 000000008254: 807C30FF 00000600
	v_mfma_f32_16x16x32_fp8_fp8 v[92:95], a[126:127], a[62:63], v[92:95]// 00000000825C: D3F3005C 1D727D7E
	v_mfma_f32_16x16x32_fp8_fp8 v[76:79], a[112:113], a[64:65], v[76:79]// 000000008264: D3F3004C 1D328170
	buffer_load_dword v56, s[20:23], 0 offen lds               // 00000000826C: E0511000 80050038
	s_add_u32 m0, 0x700, s48                                   // 000000008274: 807C30FF 00000700
	v_mfma_f32_16x16x32_fp8_fp8 v[76:79], a[114:115], a[66:67], v[76:79]// 00000000827C: D3F3004C 1D328572
	v_mfma_f32_16x16x32_fp8_fp8 v[76:79], a[116:117], a[68:69], v[76:79]// 000000008284: D3F3004C 1D328974
	buffer_load_dword v57, s[20:23], 0 offen lds               // 00000000828C: E0511000 80050039
	s_add_u32 m0, 0x800, s48                                   // 000000008294: 807C30FF 00000800
	v_mfma_f32_16x16x32_fp8_fp8 v[76:79], a[118:119], a[70:71], v[76:79]// 00000000829C: D3F3004C 1D328D76
	v_mfma_f32_16x16x32_fp8_fp8 v[96:99], a[120:121], a[64:65], v[96:99]// 0000000082A4: D3F30060 1D828178
	buffer_load_dword v58, s[20:23], 0 offen lds               // 0000000082AC: E0511000 8005003A
	s_add_u32 m0, 0x900, s48                                   // 0000000082B4: 807C30FF 00000900
	v_mfma_f32_16x16x32_fp8_fp8 v[96:99], a[122:123], a[66:67], v[96:99]// 0000000082BC: D3F30060 1D82857A
	v_mfma_f32_16x16x32_fp8_fp8 v[96:99], a[124:125], a[68:69], v[96:99]// 0000000082C4: D3F30060 1D82897C
	buffer_load_dword v59, s[20:23], 0 offen lds               // 0000000082CC: E0511000 8005003B
	s_add_u32 m0, 0, s49                                       // 0000000082D4: 807C3180
	v_mfma_f32_16x16x32_fp8_fp8 v[96:99], a[126:127], a[70:71], v[96:99]// 0000000082D8: D3F30060 1D828D7E
	v_mfma_f32_16x16x32_fp8_fp8 v[80:83], a[112:113], a[72:73], v[80:83]// 0000000082E0: D3F30050 1D429170
	v_mfma_f32_16x16x32_fp8_fp8 v[80:83], a[114:115], a[74:75], v[80:83]// 0000000082E8: D3F30050 1D429572
	v_mfma_f32_16x16x32_fp8_fp8 v[80:83], a[116:117], a[76:77], v[80:83]// 0000000082F0: D3F30050 1D429974
	v_mfma_f32_16x16x32_fp8_fp8 v[80:83], a[118:119], a[78:79], v[80:83]// 0000000082F8: D3F30050 1D429D76
	v_mfma_f32_16x16x32_fp8_fp8 v[100:103], a[120:121], a[72:73], v[100:103]// 000000008300: D3F30064 1D929178
	v_mfma_f32_16x16x32_fp8_fp8 v[100:103], a[122:123], a[74:75], v[100:103]// 000000008308: D3F30064 1D92957A
	v_mfma_f32_16x16x32_fp8_fp8 v[100:103], a[124:125], a[76:77], v[100:103]// 000000008310: D3F30064 1D92997C
	v_mfma_f32_16x16x32_fp8_fp8 v[100:103], a[126:127], a[78:79], v[100:103]// 000000008318: D3F30064 1D929D7E
	s_waitcnt vmcnt(14)                                        // 000000008320: BF8C0F7E
	s_barrier                                                  // 000000008324: BF8A0000
	v_mfma_f32_16x16x32_fp8_fp8 v[104:107], a[80:81], a[40:41], v[104:107]// 000000008328: D3F30068 1DA25150
	buffer_load_dwordx4 a[112:115], v60, s[84:87], 0 offen     // 000000008330: E05C1000 8095703C
	v_mfma_f32_16x16x32_fp8_fp8 v[104:107], a[82:83], a[42:43], v[104:107]// 000000008338: D3F30068 1DA25552
	v_mfma_f32_16x16x32_fp8_fp8 v[104:107], a[84:85], a[44:45], v[104:107]// 000000008340: D3F30068 1DA25954
	ds_read_b128 a[0:3], v2 offset:20736                       // 000000008348: DBFE5100 00000002
	ds_read_b128 a[4:7], v2 offset:20800                       // 000000008350: DBFE5140 04000002
	v_mfma_f32_16x16x32_fp8_fp8 v[104:107], a[86:87], a[46:47], v[104:107]// 000000008358: D3F30068 1DA25D56
	v_mfma_f32_16x16x32_fp8_fp8 v[124:127], a[88:89], a[40:41], v[124:127]// 000000008360: D3F3007C 1DF25158
	buffer_load_dwordx4 a[116:119], v60, s[84:87], 0 offen offset:1024// 000000008368: E05C1400 8095743C
	v_mfma_f32_16x16x32_fp8_fp8 v[124:127], a[90:91], a[42:43], v[124:127]// 000000008370: D3F3007C 1DF2555A
	v_mfma_f32_16x16x32_fp8_fp8 v[124:127], a[92:93], a[44:45], v[124:127]// 000000008378: D3F3007C 1DF2595C
	ds_read_b128 a[8:11], v2 offset:21248                      // 000000008380: DBFE5300 08000002
	ds_read_b128 a[12:15], v2 offset:21312                     // 000000008388: DBFE5340 0C000002
	v_mfma_f32_16x16x32_fp8_fp8 v[124:127], a[94:95], a[46:47], v[124:127]// 000000008390: D3F3007C 1DF25D5E
	v_mfma_f32_16x16x32_fp8_fp8 v[108:111], a[80:81], a[48:49], v[108:111]// 000000008398: D3F3006C 1DB26150
	buffer_load_dwordx4 a[120:123], v61, s[84:87], 0 offen     // 0000000083A0: E05C1000 8095783D
	v_mfma_f32_16x16x32_fp8_fp8 v[108:111], a[82:83], a[50:51], v[108:111]// 0000000083A8: D3F3006C 1DB26552
	v_mfma_f32_16x16x32_fp8_fp8 v[108:111], a[84:85], a[52:53], v[108:111]// 0000000083B0: D3F3006C 1DB26954
	ds_read_b128 a[16:19], v2 offset:21760                     // 0000000083B8: DBFE5500 10000002
	ds_read_b128 a[20:23], v2 offset:21824                     // 0000000083C0: DBFE5540 14000002
	v_mfma_f32_16x16x32_fp8_fp8 v[108:111], a[86:87], a[54:55], v[108:111]// 0000000083C8: D3F3006C 1DB26D56
	v_mfma_f32_16x16x32_fp8_fp8 v[128:131], a[88:89], a[48:49], v[128:131]// 0000000083D0: D3F30080 1E026158
	buffer_load_dwordx4 a[124:127], v61, s[84:87], 0 offen offset:1024// 0000000083D8: E05C1400 80957C3D
	v_mfma_f32_16x16x32_fp8_fp8 v[128:131], a[90:91], a[50:51], v[128:131]// 0000000083E0: D3F30080 1E02655A
	v_mfma_f32_16x16x32_fp8_fp8 v[128:131], a[92:93], a[52:53], v[128:131]// 0000000083E8: D3F30080 1E02695C
	ds_read_b128 a[24:27], v2 offset:22272                     // 0000000083F0: DBFE5700 18000002
	ds_read_b128 a[28:31], v2 offset:22336                     // 0000000083F8: DBFE5740 1C000002
	v_mfma_f32_16x16x32_fp8_fp8 v[128:131], a[94:95], a[54:55], v[128:131]// 000000008400: D3F30080 1E026D5E
	v_mfma_f32_16x16x32_fp8_fp8 v[112:115], a[80:81], a[56:57], v[112:115]// 000000008408: D3F30070 1DC27150
	v_mfma_f32_16x16x32_fp8_fp8 v[112:115], a[82:83], a[58:59], v[112:115]// 000000008410: D3F30070 1DC27552
	v_mfma_f32_16x16x32_fp8_fp8 v[112:115], a[84:85], a[60:61], v[112:115]// 000000008418: D3F30070 1DC27954
	ds_read_b128 a[32:35], v2 offset:22784                     // 000000008420: DBFE5900 20000002
	ds_read_b128 a[36:39], v2 offset:22848                     // 000000008428: DBFE5940 24000002
	v_mfma_f32_16x16x32_fp8_fp8 v[112:115], a[86:87], a[62:63], v[112:115]// 000000008430: D3F30070 1DC27D56
	v_mfma_f32_16x16x32_fp8_fp8 v[132:135], a[88:89], a[56:57], v[132:135]// 000000008438: D3F30084 1E127158
	v_mfma_f32_16x16x32_fp8_fp8 v[132:135], a[90:91], a[58:59], v[132:135]// 000000008440: D3F30084 1E12755A
	v_mfma_f32_16x16x32_fp8_fp8 v[132:135], a[92:93], a[60:61], v[132:135]// 000000008448: D3F30084 1E12795C
	v_mfma_f32_16x16x32_fp8_fp8 v[132:135], a[94:95], a[62:63], v[132:135]// 000000008450: D3F30084 1E127D5E
	v_mfma_f32_16x16x32_fp8_fp8 v[116:119], a[80:81], a[64:65], v[116:119]// 000000008458: D3F30074 1DD28150
	v_mfma_f32_16x16x32_fp8_fp8 v[116:119], a[82:83], a[66:67], v[116:119]// 000000008460: D3F30074 1DD28552
	v_mfma_f32_16x16x32_fp8_fp8 v[116:119], a[84:85], a[68:69], v[116:119]// 000000008468: D3F30074 1DD28954
	v_mfma_f32_16x16x32_fp8_fp8 v[116:119], a[86:87], a[70:71], v[116:119]// 000000008470: D3F30074 1DD28D56
	v_mfma_f32_16x16x32_fp8_fp8 v[136:139], a[88:89], a[64:65], v[136:139]// 000000008478: D3F30088 1E228158
	v_mfma_f32_16x16x32_fp8_fp8 v[136:139], a[90:91], a[66:67], v[136:139]// 000000008480: D3F30088 1E22855A
	v_mfma_f32_16x16x32_fp8_fp8 v[136:139], a[92:93], a[68:69], v[136:139]// 000000008488: D3F30088 1E22895C
	v_mfma_f32_16x16x32_fp8_fp8 v[136:139], a[94:95], a[70:71], v[136:139]// 000000008490: D3F30088 1E228D5E
	v_mfma_f32_16x16x32_fp8_fp8 v[120:123], a[80:81], a[72:73], v[120:123]// 000000008498: D3F30078 1DE29150
	s_add_u32 s60, 0x180, s80                                  // 0000000084A0: 803C50FF 00000180
	s_cmp_lt_u32 s60, s81                                      // 0000000084A8: BF0A513C
	s_cselect_b32 s57, s57, 0                                  // 0000000084AC: 85398039
	v_mfma_f32_16x16x32_fp8_fp8 v[120:123], a[82:83], a[74:75], v[120:123]// 0000000084B0: D3F30078 1DE29552
	s_add_u32 s60, 0x100, s80                                  // 0000000084B8: 803C50FF 00000100
	s_cmp_lt_u32 s60, s81                                      // 0000000084C0: BF0A513C
	s_cselect_b32 s58, s58, 0                                  // 0000000084C4: 853A803A
	v_mfma_f32_16x16x32_fp8_fp8 v[120:123], a[84:85], a[76:77], v[120:123]// 0000000084C8: D3F30078 1DE29954
	s_add_u32 s60, 0x100, s80                                  // 0000000084D0: 803C50FF 00000100
	s_cmp_lt_u32 s60, s81                                      // 0000000084D8: BF0A513C
	s_cselect_b32 s83, s83, 0                                  // 0000000084DC: 85538053
	v_mfma_f32_16x16x32_fp8_fp8 v[120:123], a[86:87], a[78:79], v[120:123]// 0000000084E0: D3F30078 1DE29D56
	s_add_u32 s24, s58, s24                                    // 0000000084E8: 8018183A
	s_addc_u32 s25, 0, s25                                     // 0000000084EC: 82191980
	v_mfma_f32_16x16x32_fp8_fp8 v[140:143], a[88:89], a[72:73], v[140:143]// 0000000084F0: D3F3008C 1E329158
	s_add_u32 s20, s57, s20                                    // 0000000084F8: 80141439
	s_addc_u32 s21, 0, s21                                     // 0000000084FC: 82151580
	v_mfma_f32_16x16x32_fp8_fp8 v[140:143], a[90:91], a[74:75], v[140:143]// 000000008500: D3F3008C 1E32955A
	s_add_u32 s84, s83, s84                                    // 000000008508: 80545453
	s_addc_u32 s85, 0, s85                                     // 00000000850C: 82555580
	v_mfma_f32_16x16x32_fp8_fp8 v[140:143], a[92:93], a[76:77], v[140:143]// 000000008510: D3F3008C 1E32995C
	v_mfma_f32_16x16x32_fp8_fp8 v[140:143], a[94:95], a[78:79], v[140:143]// 000000008518: D3F3008C 1E329D5E
	s_addk_i32 s80, 0x80                                       // 000000008520: B7500080
	s_cmp_lt_i32 s80, s81                                      // 000000008524: BF045150
	s_cbranch_scc0 label_1ADB                                  // 000000008528: BF84040D
	s_waitcnt vmcnt(14) lgkmcnt(0)                             // 00000000852C: BF8C007E
	v_mfma_f32_16x16x32_fp8_fp8 v[64:67], a[96:97], a[0:1], v[64:67]// 000000008530: D3F30040 1D020160
	buffer_load_dwordx4 a[80:83], v60, s[24:27], 0 offen       // 000000008538: E05C1000 8086503C
	v_mfma_f32_16x16x32_fp8_fp8 v[64:67], a[98:99], a[2:3], v[64:67]// 000000008540: D3F30040 1D020562
	v_mfma_f32_16x16x32_fp8_fp8 v[64:67], a[100:101], a[4:5], v[64:67]// 000000008548: D3F30040 1D020964
	v_mfma_f32_16x16x32_fp8_fp8 v[64:67], a[102:103], a[6:7], v[64:67]// 000000008550: D3F30040 1D020D66
	v_mfma_f32_16x16x32_fp8_fp8 v[84:87], a[104:105], a[0:1], v[84:87]// 000000008558: D3F30054 1D520168
	buffer_load_dwordx4 a[84:87], v60, s[24:27], 0 offen offset:1024// 000000008560: E05C1400 8086543C
	v_mfma_f32_16x16x32_fp8_fp8 v[84:87], a[106:107], a[2:3], v[84:87]// 000000008568: D3F30054 1D52056A
	v_mfma_f32_16x16x32_fp8_fp8 v[84:87], a[108:109], a[4:5], v[84:87]// 000000008570: D3F30054 1D52096C
	v_mfma_f32_16x16x32_fp8_fp8 v[84:87], a[110:111], a[6:7], v[84:87]// 000000008578: D3F30054 1D520D6E
	v_mfma_f32_16x16x32_fp8_fp8 v[68:71], a[96:97], a[8:9], v[68:71]// 000000008580: D3F30044 1D121160
	buffer_load_dwordx4 a[88:91], v61, s[24:27], 0 offen       // 000000008588: E05C1000 8086583D
	v_mfma_f32_16x16x32_fp8_fp8 v[68:71], a[98:99], a[10:11], v[68:71]// 000000008590: D3F30044 1D121562
	v_mfma_f32_16x16x32_fp8_fp8 v[68:71], a[100:101], a[12:13], v[68:71]// 000000008598: D3F30044 1D121964
	v_mfma_f32_16x16x32_fp8_fp8 v[68:71], a[102:103], a[14:15], v[68:71]// 0000000085A0: D3F30044 1D121D66
	v_mfma_f32_16x16x32_fp8_fp8 v[88:91], a[104:105], a[8:9], v[88:91]// 0000000085A8: D3F30058 1D621168
	buffer_load_dwordx4 a[92:95], v61, s[24:27], 0 offen offset:1024// 0000000085B0: E05C1400 80865C3D
	buffer_load_dword v50, s[20:23], 0 offen lds               // 0000000085B8: E0511000 80050032
	s_add_u32 m0, 0x100, s49                                   // 0000000085C0: 807C31FF 00000100
	v_mfma_f32_16x16x32_fp8_fp8 v[88:91], a[106:107], a[10:11], v[88:91]// 0000000085C8: D3F30058 1D62156A
	v_mfma_f32_16x16x32_fp8_fp8 v[88:91], a[108:109], a[12:13], v[88:91]// 0000000085D0: D3F30058 1D62196C
	buffer_load_dword v51, s[20:23], 0 offen lds               // 0000000085D8: E0511000 80050033
	s_add_u32 m0, 0x200, s49                                   // 0000000085E0: 807C31FF 00000200
	v_mfma_f32_16x16x32_fp8_fp8 v[88:91], a[110:111], a[14:15], v[88:91]// 0000000085E8: D3F30058 1D621D6E
	v_mfma_f32_16x16x32_fp8_fp8 v[72:75], a[96:97], a[16:17], v[72:75]// 0000000085F0: D3F30048 1D222160
	buffer_load_dword v52, s[20:23], 0 offen lds               // 0000000085F8: E0511000 80050034
	s_add_u32 m0, 0x300, s49                                   // 000000008600: 807C31FF 00000300
	v_mfma_f32_16x16x32_fp8_fp8 v[72:75], a[98:99], a[18:19], v[72:75]// 000000008608: D3F30048 1D222562
	v_mfma_f32_16x16x32_fp8_fp8 v[72:75], a[100:101], a[20:21], v[72:75]// 000000008610: D3F30048 1D222964
	buffer_load_dword v53, s[20:23], 0 offen lds               // 000000008618: E0511000 80050035
	s_add_u32 m0, 0x400, s49                                   // 000000008620: 807C31FF 00000400
	v_mfma_f32_16x16x32_fp8_fp8 v[72:75], a[102:103], a[22:23], v[72:75]// 000000008628: D3F30048 1D222D66
	v_mfma_f32_16x16x32_fp8_fp8 v[92:95], a[104:105], a[16:17], v[92:95]// 000000008630: D3F3005C 1D722168
	buffer_load_dword v54, s[20:23], 0 offen lds               // 000000008638: E0511000 80050036
	s_add_u32 m0, 0x500, s49                                   // 000000008640: 807C31FF 00000500
	v_mfma_f32_16x16x32_fp8_fp8 v[92:95], a[106:107], a[18:19], v[92:95]// 000000008648: D3F3005C 1D72256A
	v_mfma_f32_16x16x32_fp8_fp8 v[92:95], a[108:109], a[20:21], v[92:95]// 000000008650: D3F3005C 1D72296C
	buffer_load_dword v55, s[20:23], 0 offen lds               // 000000008658: E0511000 80050037
	s_add_u32 m0, 0x600, s49                                   // 000000008660: 807C31FF 00000600
	v_mfma_f32_16x16x32_fp8_fp8 v[92:95], a[110:111], a[22:23], v[92:95]// 000000008668: D3F3005C 1D722D6E
	v_mfma_f32_16x16x32_fp8_fp8 v[76:79], a[96:97], a[24:25], v[76:79]// 000000008670: D3F3004C 1D323160
	buffer_load_dword v56, s[20:23], 0 offen lds               // 000000008678: E0511000 80050038
	s_add_u32 m0, 0x700, s49                                   // 000000008680: 807C31FF 00000700
	v_mfma_f32_16x16x32_fp8_fp8 v[76:79], a[98:99], a[26:27], v[76:79]// 000000008688: D3F3004C 1D323562
	v_mfma_f32_16x16x32_fp8_fp8 v[76:79], a[100:101], a[28:29], v[76:79]// 000000008690: D3F3004C 1D323964
	buffer_load_dword v57, s[20:23], 0 offen lds               // 000000008698: E0511000 80050039
	s_add_u32 m0, 0x800, s49                                   // 0000000086A0: 807C31FF 00000800
	v_mfma_f32_16x16x32_fp8_fp8 v[76:79], a[102:103], a[30:31], v[76:79]// 0000000086A8: D3F3004C 1D323D66
	v_mfma_f32_16x16x32_fp8_fp8 v[96:99], a[104:105], a[24:25], v[96:99]// 0000000086B0: D3F30060 1D823168
	buffer_load_dword v58, s[20:23], 0 offen lds               // 0000000086B8: E0511000 8005003A
	s_add_u32 m0, 0x900, s49                                   // 0000000086C0: 807C31FF 00000900
	v_mfma_f32_16x16x32_fp8_fp8 v[96:99], a[106:107], a[26:27], v[96:99]// 0000000086C8: D3F30060 1D82356A
	v_mfma_f32_16x16x32_fp8_fp8 v[96:99], a[108:109], a[28:29], v[96:99]// 0000000086D0: D3F30060 1D82396C
	buffer_load_dword v59, s[20:23], 0 offen lds               // 0000000086D8: E0511000 8005003B
	s_add_u32 m0, 0, s50                                       // 0000000086E0: 807C3280
	v_mfma_f32_16x16x32_fp8_fp8 v[96:99], a[110:111], a[30:31], v[96:99]// 0000000086E4: D3F30060 1D823D6E
	v_mfma_f32_16x16x32_fp8_fp8 v[80:83], a[96:97], a[32:33], v[80:83]// 0000000086EC: D3F30050 1D424160
	v_mfma_f32_16x16x32_fp8_fp8 v[80:83], a[98:99], a[34:35], v[80:83]// 0000000086F4: D3F30050 1D424562
	v_mfma_f32_16x16x32_fp8_fp8 v[80:83], a[100:101], a[36:37], v[80:83]// 0000000086FC: D3F30050 1D424964
	v_mfma_f32_16x16x32_fp8_fp8 v[80:83], a[102:103], a[38:39], v[80:83]// 000000008704: D3F30050 1D424D66
	v_mfma_f32_16x16x32_fp8_fp8 v[100:103], a[104:105], a[32:33], v[100:103]// 00000000870C: D3F30064 1D924168
	v_mfma_f32_16x16x32_fp8_fp8 v[100:103], a[106:107], a[34:35], v[100:103]// 000000008714: D3F30064 1D92456A
	v_mfma_f32_16x16x32_fp8_fp8 v[100:103], a[108:109], a[36:37], v[100:103]// 00000000871C: D3F30064 1D92496C
	v_mfma_f32_16x16x32_fp8_fp8 v[100:103], a[110:111], a[38:39], v[100:103]// 000000008724: D3F30064 1D924D6E
	s_waitcnt vmcnt(14)                                        // 00000000872C: BF8C0F7E
	s_barrier                                                  // 000000008730: BF8A0000
	v_mfma_f32_16x16x32_fp8_fp8 v[104:107], a[112:113], a[0:1], v[104:107]// 000000008734: D3F30068 1DA20170
	buffer_load_dwordx4 a[96:99], v60, s[84:87], 0 offen       // 00000000873C: E05C1000 8095603C
	v_mfma_f32_16x16x32_fp8_fp8 v[104:107], a[114:115], a[2:3], v[104:107]// 000000008744: D3F30068 1DA20572
	v_mfma_f32_16x16x32_fp8_fp8 v[104:107], a[116:117], a[4:5], v[104:107]// 00000000874C: D3F30068 1DA20974
	ds_read_b128 a[40:43], v2                                  // 000000008754: DBFE0000 28000002
	ds_read_b128 a[44:47], v2 offset:64                        // 00000000875C: DBFE0040 2C000002
	v_mfma_f32_16x16x32_fp8_fp8 v[104:107], a[118:119], a[6:7], v[104:107]// 000000008764: D3F30068 1DA20D76
	v_mfma_f32_16x16x32_fp8_fp8 v[124:127], a[120:121], a[0:1], v[124:127]// 00000000876C: D3F3007C 1DF20178
	buffer_load_dwordx4 a[100:103], v60, s[84:87], 0 offen offset:1024// 000000008774: E05C1400 8095643C
	v_mfma_f32_16x16x32_fp8_fp8 v[124:127], a[122:123], a[2:3], v[124:127]// 00000000877C: D3F3007C 1DF2057A
	v_mfma_f32_16x16x32_fp8_fp8 v[124:127], a[124:125], a[4:5], v[124:127]// 000000008784: D3F3007C 1DF2097C
	ds_read_b128 a[48:51], v2 offset:512                       // 00000000878C: DBFE0200 30000002
	ds_read_b128 a[52:55], v2 offset:576                       // 000000008794: DBFE0240 34000002
	v_mfma_f32_16x16x32_fp8_fp8 v[124:127], a[126:127], a[6:7], v[124:127]// 00000000879C: D3F3007C 1DF20D7E
	v_mfma_f32_16x16x32_fp8_fp8 v[108:111], a[112:113], a[8:9], v[108:111]// 0000000087A4: D3F3006C 1DB21170
	buffer_load_dwordx4 a[104:107], v61, s[84:87], 0 offen     // 0000000087AC: E05C1000 8095683D
	v_mfma_f32_16x16x32_fp8_fp8 v[108:111], a[114:115], a[10:11], v[108:111]// 0000000087B4: D3F3006C 1DB21572
	v_mfma_f32_16x16x32_fp8_fp8 v[108:111], a[116:117], a[12:13], v[108:111]// 0000000087BC: D3F3006C 1DB21974
	ds_read_b128 a[56:59], v2 offset:1024                      // 0000000087C4: DBFE0400 38000002
	ds_read_b128 a[60:63], v2 offset:1088                      // 0000000087CC: DBFE0440 3C000002
	v_mfma_f32_16x16x32_fp8_fp8 v[108:111], a[118:119], a[14:15], v[108:111]// 0000000087D4: D3F3006C 1DB21D76
	v_mfma_f32_16x16x32_fp8_fp8 v[128:131], a[120:121], a[8:9], v[128:131]// 0000000087DC: D3F30080 1E021178
	buffer_load_dwordx4 a[108:111], v61, s[84:87], 0 offen offset:1024// 0000000087E4: E05C1400 80956C3D
	v_mfma_f32_16x16x32_fp8_fp8 v[128:131], a[122:123], a[10:11], v[128:131]// 0000000087EC: D3F30080 1E02157A
	v_mfma_f32_16x16x32_fp8_fp8 v[128:131], a[124:125], a[12:13], v[128:131]// 0000000087F4: D3F30080 1E02197C
	ds_read_b128 a[64:67], v2 offset:1536                      // 0000000087FC: DBFE0600 40000002
	ds_read_b128 a[68:71], v2 offset:1600                      // 000000008804: DBFE0640 44000002
	v_mfma_f32_16x16x32_fp8_fp8 v[128:131], a[126:127], a[14:15], v[128:131]// 00000000880C: D3F30080 1E021D7E
	v_mfma_f32_16x16x32_fp8_fp8 v[112:115], a[112:113], a[16:17], v[112:115]// 000000008814: D3F30070 1DC22170
	v_mfma_f32_16x16x32_fp8_fp8 v[112:115], a[114:115], a[18:19], v[112:115]// 00000000881C: D3F30070 1DC22572
	v_mfma_f32_16x16x32_fp8_fp8 v[112:115], a[116:117], a[20:21], v[112:115]// 000000008824: D3F30070 1DC22974
	ds_read_b128 a[72:75], v2 offset:2048                      // 00000000882C: DBFE0800 48000002
	ds_read_b128 a[76:79], v2 offset:2112                      // 000000008834: DBFE0840 4C000002
	v_mfma_f32_16x16x32_fp8_fp8 v[112:115], a[118:119], a[22:23], v[112:115]// 00000000883C: D3F30070 1DC22D76
	v_mfma_f32_16x16x32_fp8_fp8 v[132:135], a[120:121], a[16:17], v[132:135]// 000000008844: D3F30084 1E122178
	v_mfma_f32_16x16x32_fp8_fp8 v[132:135], a[122:123], a[18:19], v[132:135]// 00000000884C: D3F30084 1E12257A
	v_mfma_f32_16x16x32_fp8_fp8 v[132:135], a[124:125], a[20:21], v[132:135]// 000000008854: D3F30084 1E12297C
	v_mfma_f32_16x16x32_fp8_fp8 v[132:135], a[126:127], a[22:23], v[132:135]// 00000000885C: D3F30084 1E122D7E
	v_mfma_f32_16x16x32_fp8_fp8 v[116:119], a[112:113], a[24:25], v[116:119]// 000000008864: D3F30074 1DD23170
	v_mfma_f32_16x16x32_fp8_fp8 v[116:119], a[114:115], a[26:27], v[116:119]// 00000000886C: D3F30074 1DD23572
	v_mfma_f32_16x16x32_fp8_fp8 v[116:119], a[116:117], a[28:29], v[116:119]// 000000008874: D3F30074 1DD23974
	v_mfma_f32_16x16x32_fp8_fp8 v[116:119], a[118:119], a[30:31], v[116:119]// 00000000887C: D3F30074 1DD23D76
	v_mfma_f32_16x16x32_fp8_fp8 v[136:139], a[120:121], a[24:25], v[136:139]// 000000008884: D3F30088 1E223178
	v_mfma_f32_16x16x32_fp8_fp8 v[136:139], a[122:123], a[26:27], v[136:139]// 00000000888C: D3F30088 1E22357A
	v_mfma_f32_16x16x32_fp8_fp8 v[136:139], a[124:125], a[28:29], v[136:139]// 000000008894: D3F30088 1E22397C
	v_mfma_f32_16x16x32_fp8_fp8 v[136:139], a[126:127], a[30:31], v[136:139]// 00000000889C: D3F30088 1E223D7E
	v_mfma_f32_16x16x32_fp8_fp8 v[120:123], a[112:113], a[32:33], v[120:123]// 0000000088A4: D3F30078 1DE24170
	s_add_u32 s60, 0x180, s80                                  // 0000000088AC: 803C50FF 00000180
	s_cmp_lt_u32 s60, s81                                      // 0000000088B4: BF0A513C
	s_cselect_b32 s57, s57, 0                                  // 0000000088B8: 85398039
	v_mfma_f32_16x16x32_fp8_fp8 v[120:123], a[114:115], a[34:35], v[120:123]// 0000000088BC: D3F30078 1DE24572
	s_add_u32 s60, 0x100, s80                                  // 0000000088C4: 803C50FF 00000100
	s_cmp_lt_u32 s60, s81                                      // 0000000088CC: BF0A513C
	s_cselect_b32 s58, s58, 0                                  // 0000000088D0: 853A803A
	v_mfma_f32_16x16x32_fp8_fp8 v[120:123], a[116:117], a[36:37], v[120:123]// 0000000088D4: D3F30078 1DE24974
	s_add_u32 s60, 0x100, s80                                  // 0000000088DC: 803C50FF 00000100
	s_cmp_lt_u32 s60, s81                                      // 0000000088E4: BF0A513C
	s_cselect_b32 s83, s83, 0                                  // 0000000088E8: 85538053
	v_mfma_f32_16x16x32_fp8_fp8 v[120:123], a[118:119], a[38:39], v[120:123]// 0000000088EC: D3F30078 1DE24D76
	s_add_u32 s24, s58, s24                                    // 0000000088F4: 8018183A
	s_addc_u32 s25, 0, s25                                     // 0000000088F8: 82191980
	v_mfma_f32_16x16x32_fp8_fp8 v[140:143], a[120:121], a[32:33], v[140:143]// 0000000088FC: D3F3008C 1E324178
	s_add_u32 s20, s57, s20                                    // 000000008904: 80141439
	s_addc_u32 s21, 0, s21                                     // 000000008908: 82151580
	v_mfma_f32_16x16x32_fp8_fp8 v[140:143], a[122:123], a[34:35], v[140:143]// 00000000890C: D3F3008C 1E32457A
	s_add_u32 s84, s83, s84                                    // 000000008914: 80545453
	s_addc_u32 s85, 0, s85                                     // 000000008918: 82555580
	v_mfma_f32_16x16x32_fp8_fp8 v[140:143], a[124:125], a[36:37], v[140:143]// 00000000891C: D3F3008C 1E32497C
	v_mfma_f32_16x16x32_fp8_fp8 v[140:143], a[126:127], a[38:39], v[140:143]// 000000008924: D3F3008C 1E324D7E
	s_addk_i32 s80, 0x80                                       // 00000000892C: B7500080
	s_cmp_lt_i32 s80, s81                                      // 000000008930: BF045150
	s_cbranch_scc0 label_1ADB                                  // 000000008934: BF84030A
	s_waitcnt vmcnt(14) lgkmcnt(0)                             // 000000008938: BF8C007E
	v_mfma_f32_16x16x32_fp8_fp8 v[64:67], a[80:81], a[40:41], v[64:67]// 00000000893C: D3F30040 1D025150
	buffer_load_dwordx4 a[112:115], v60, s[24:27], 0 offen     // 000000008944: E05C1000 8086703C
	v_mfma_f32_16x16x32_fp8_fp8 v[64:67], a[82:83], a[42:43], v[64:67]// 00000000894C: D3F30040 1D025552
	v_mfma_f32_16x16x32_fp8_fp8 v[64:67], a[84:85], a[44:45], v[64:67]// 000000008954: D3F30040 1D025954
	v_mfma_f32_16x16x32_fp8_fp8 v[64:67], a[86:87], a[46:47], v[64:67]// 00000000895C: D3F30040 1D025D56
	v_mfma_f32_16x16x32_fp8_fp8 v[84:87], a[88:89], a[40:41], v[84:87]// 000000008964: D3F30054 1D525158
	buffer_load_dwordx4 a[116:119], v60, s[24:27], 0 offen offset:1024// 00000000896C: E05C1400 8086743C
	v_mfma_f32_16x16x32_fp8_fp8 v[84:87], a[90:91], a[42:43], v[84:87]// 000000008974: D3F30054 1D52555A
	v_mfma_f32_16x16x32_fp8_fp8 v[84:87], a[92:93], a[44:45], v[84:87]// 00000000897C: D3F30054 1D52595C
	v_mfma_f32_16x16x32_fp8_fp8 v[84:87], a[94:95], a[46:47], v[84:87]// 000000008984: D3F30054 1D525D5E
	v_mfma_f32_16x16x32_fp8_fp8 v[68:71], a[80:81], a[48:49], v[68:71]// 00000000898C: D3F30044 1D126150
	buffer_load_dwordx4 a[120:123], v61, s[24:27], 0 offen     // 000000008994: E05C1000 8086783D
	v_mfma_f32_16x16x32_fp8_fp8 v[68:71], a[82:83], a[50:51], v[68:71]// 00000000899C: D3F30044 1D126552
	v_mfma_f32_16x16x32_fp8_fp8 v[68:71], a[84:85], a[52:53], v[68:71]// 0000000089A4: D3F30044 1D126954
	v_mfma_f32_16x16x32_fp8_fp8 v[68:71], a[86:87], a[54:55], v[68:71]// 0000000089AC: D3F30044 1D126D56
	v_mfma_f32_16x16x32_fp8_fp8 v[88:91], a[88:89], a[48:49], v[88:91]// 0000000089B4: D3F30058 1D626158
	buffer_load_dwordx4 a[124:127], v61, s[24:27], 0 offen offset:1024// 0000000089BC: E05C1400 80867C3D
	buffer_load_dword v50, s[20:23], 0 offen lds               // 0000000089C4: E0511000 80050032
	s_add_u32 m0, 0x100, s50                                   // 0000000089CC: 807C32FF 00000100
	v_mfma_f32_16x16x32_fp8_fp8 v[88:91], a[90:91], a[50:51], v[88:91]// 0000000089D4: D3F30058 1D62655A
	v_mfma_f32_16x16x32_fp8_fp8 v[88:91], a[92:93], a[52:53], v[88:91]// 0000000089DC: D3F30058 1D62695C
	buffer_load_dword v51, s[20:23], 0 offen lds               // 0000000089E4: E0511000 80050033
	s_add_u32 m0, 0x200, s50                                   // 0000000089EC: 807C32FF 00000200
	v_mfma_f32_16x16x32_fp8_fp8 v[88:91], a[94:95], a[54:55], v[88:91]// 0000000089F4: D3F30058 1D626D5E
	v_mfma_f32_16x16x32_fp8_fp8 v[72:75], a[80:81], a[56:57], v[72:75]// 0000000089FC: D3F30048 1D227150
	buffer_load_dword v52, s[20:23], 0 offen lds               // 000000008A04: E0511000 80050034
	s_add_u32 m0, 0x300, s50                                   // 000000008A0C: 807C32FF 00000300
	v_mfma_f32_16x16x32_fp8_fp8 v[72:75], a[82:83], a[58:59], v[72:75]// 000000008A14: D3F30048 1D227552
	v_mfma_f32_16x16x32_fp8_fp8 v[72:75], a[84:85], a[60:61], v[72:75]// 000000008A1C: D3F30048 1D227954
	buffer_load_dword v53, s[20:23], 0 offen lds               // 000000008A24: E0511000 80050035
	s_add_u32 m0, 0x400, s50                                   // 000000008A2C: 807C32FF 00000400
	v_mfma_f32_16x16x32_fp8_fp8 v[72:75], a[86:87], a[62:63], v[72:75]// 000000008A34: D3F30048 1D227D56
	v_mfma_f32_16x16x32_fp8_fp8 v[92:95], a[88:89], a[56:57], v[92:95]// 000000008A3C: D3F3005C 1D727158
	buffer_load_dword v54, s[20:23], 0 offen lds               // 000000008A44: E0511000 80050036
	s_add_u32 m0, 0x500, s50                                   // 000000008A4C: 807C32FF 00000500
	v_mfma_f32_16x16x32_fp8_fp8 v[92:95], a[90:91], a[58:59], v[92:95]// 000000008A54: D3F3005C 1D72755A
	v_mfma_f32_16x16x32_fp8_fp8 v[92:95], a[92:93], a[60:61], v[92:95]// 000000008A5C: D3F3005C 1D72795C
	buffer_load_dword v55, s[20:23], 0 offen lds               // 000000008A64: E0511000 80050037
	s_add_u32 m0, 0x600, s50                                   // 000000008A6C: 807C32FF 00000600
	v_mfma_f32_16x16x32_fp8_fp8 v[92:95], a[94:95], a[62:63], v[92:95]// 000000008A74: D3F3005C 1D727D5E
	v_mfma_f32_16x16x32_fp8_fp8 v[76:79], a[80:81], a[64:65], v[76:79]// 000000008A7C: D3F3004C 1D328150
	buffer_load_dword v56, s[20:23], 0 offen lds               // 000000008A84: E0511000 80050038
	s_add_u32 m0, 0x700, s50                                   // 000000008A8C: 807C32FF 00000700
	v_mfma_f32_16x16x32_fp8_fp8 v[76:79], a[82:83], a[66:67], v[76:79]// 000000008A94: D3F3004C 1D328552
	v_mfma_f32_16x16x32_fp8_fp8 v[76:79], a[84:85], a[68:69], v[76:79]// 000000008A9C: D3F3004C 1D328954
	buffer_load_dword v57, s[20:23], 0 offen lds               // 000000008AA4: E0511000 80050039
	s_add_u32 m0, 0x800, s50                                   // 000000008AAC: 807C32FF 00000800
	v_mfma_f32_16x16x32_fp8_fp8 v[76:79], a[86:87], a[70:71], v[76:79]// 000000008AB4: D3F3004C 1D328D56
	v_mfma_f32_16x16x32_fp8_fp8 v[96:99], a[88:89], a[64:65], v[96:99]// 000000008ABC: D3F30060 1D828158
	buffer_load_dword v58, s[20:23], 0 offen lds               // 000000008AC4: E0511000 8005003A
	s_add_u32 m0, 0x900, s50                                   // 000000008ACC: 807C32FF 00000900
	v_mfma_f32_16x16x32_fp8_fp8 v[96:99], a[90:91], a[66:67], v[96:99]// 000000008AD4: D3F30060 1D82855A
	v_mfma_f32_16x16x32_fp8_fp8 v[96:99], a[92:93], a[68:69], v[96:99]// 000000008ADC: D3F30060 1D82895C
	buffer_load_dword v59, s[20:23], 0 offen lds               // 000000008AE4: E0511000 8005003B
	s_add_u32 m0, 0, s48                                       // 000000008AEC: 807C3080
	v_mfma_f32_16x16x32_fp8_fp8 v[96:99], a[94:95], a[70:71], v[96:99]// 000000008AF0: D3F30060 1D828D5E
	v_mfma_f32_16x16x32_fp8_fp8 v[80:83], a[80:81], a[72:73], v[80:83]// 000000008AF8: D3F30050 1D429150
	v_mfma_f32_16x16x32_fp8_fp8 v[80:83], a[82:83], a[74:75], v[80:83]// 000000008B00: D3F30050 1D429552
	v_mfma_f32_16x16x32_fp8_fp8 v[80:83], a[84:85], a[76:77], v[80:83]// 000000008B08: D3F30050 1D429954
	v_mfma_f32_16x16x32_fp8_fp8 v[80:83], a[86:87], a[78:79], v[80:83]// 000000008B10: D3F30050 1D429D56
	v_mfma_f32_16x16x32_fp8_fp8 v[100:103], a[88:89], a[72:73], v[100:103]// 000000008B18: D3F30064 1D929158
	v_mfma_f32_16x16x32_fp8_fp8 v[100:103], a[90:91], a[74:75], v[100:103]// 000000008B20: D3F30064 1D92955A
	v_mfma_f32_16x16x32_fp8_fp8 v[100:103], a[92:93], a[76:77], v[100:103]// 000000008B28: D3F30064 1D92995C
	v_mfma_f32_16x16x32_fp8_fp8 v[100:103], a[94:95], a[78:79], v[100:103]// 000000008B30: D3F30064 1D929D5E
	s_waitcnt vmcnt(14)                                        // 000000008B38: BF8C0F7E
	s_barrier                                                  // 000000008B3C: BF8A0000
	v_mfma_f32_16x16x32_fp8_fp8 v[104:107], a[96:97], a[40:41], v[104:107]// 000000008B40: D3F30068 1DA25160
	buffer_load_dwordx4 a[80:83], v60, s[84:87], 0 offen       // 000000008B48: E05C1000 8095503C
	v_mfma_f32_16x16x32_fp8_fp8 v[104:107], a[98:99], a[42:43], v[104:107]// 000000008B50: D3F30068 1DA25562
	v_mfma_f32_16x16x32_fp8_fp8 v[104:107], a[100:101], a[44:45], v[104:107]// 000000008B58: D3F30068 1DA25964
	ds_read_b128 a[0:3], v2 offset:10368                       // 000000008B60: DBFE2880 00000002
	ds_read_b128 a[4:7], v2 offset:10432                       // 000000008B68: DBFE28C0 04000002
	v_mfma_f32_16x16x32_fp8_fp8 v[104:107], a[102:103], a[46:47], v[104:107]// 000000008B70: D3F30068 1DA25D66
	v_mfma_f32_16x16x32_fp8_fp8 v[124:127], a[104:105], a[40:41], v[124:127]// 000000008B78: D3F3007C 1DF25168
	buffer_load_dwordx4 a[84:87], v60, s[84:87], 0 offen offset:1024// 000000008B80: E05C1400 8095543C
	v_mfma_f32_16x16x32_fp8_fp8 v[124:127], a[106:107], a[42:43], v[124:127]// 000000008B88: D3F3007C 1DF2556A
	v_mfma_f32_16x16x32_fp8_fp8 v[124:127], a[108:109], a[44:45], v[124:127]// 000000008B90: D3F3007C 1DF2596C
	ds_read_b128 a[8:11], v2 offset:10880                      // 000000008B98: DBFE2A80 08000002
	ds_read_b128 a[12:15], v2 offset:10944                     // 000000008BA0: DBFE2AC0 0C000002
	v_mfma_f32_16x16x32_fp8_fp8 v[124:127], a[110:111], a[46:47], v[124:127]// 000000008BA8: D3F3007C 1DF25D6E
	v_mfma_f32_16x16x32_fp8_fp8 v[108:111], a[96:97], a[48:49], v[108:111]// 000000008BB0: D3F3006C 1DB26160
	buffer_load_dwordx4 a[88:91], v61, s[84:87], 0 offen       // 000000008BB8: E05C1000 8095583D
	v_mfma_f32_16x16x32_fp8_fp8 v[108:111], a[98:99], a[50:51], v[108:111]// 000000008BC0: D3F3006C 1DB26562
	v_mfma_f32_16x16x32_fp8_fp8 v[108:111], a[100:101], a[52:53], v[108:111]// 000000008BC8: D3F3006C 1DB26964
	ds_read_b128 a[16:19], v2 offset:11392                     // 000000008BD0: DBFE2C80 10000002
	ds_read_b128 a[20:23], v2 offset:11456                     // 000000008BD8: DBFE2CC0 14000002
	v_mfma_f32_16x16x32_fp8_fp8 v[108:111], a[102:103], a[54:55], v[108:111]// 000000008BE0: D3F3006C 1DB26D66
	v_mfma_f32_16x16x32_fp8_fp8 v[128:131], a[104:105], a[48:49], v[128:131]// 000000008BE8: D3F30080 1E026168
	buffer_load_dwordx4 a[92:95], v61, s[84:87], 0 offen offset:1024// 000000008BF0: E05C1400 80955C3D
	v_mfma_f32_16x16x32_fp8_fp8 v[128:131], a[106:107], a[50:51], v[128:131]// 000000008BF8: D3F30080 1E02656A
	v_mfma_f32_16x16x32_fp8_fp8 v[128:131], a[108:109], a[52:53], v[128:131]// 000000008C00: D3F30080 1E02696C
	ds_read_b128 a[24:27], v2 offset:11904                     // 000000008C08: DBFE2E80 18000002
	ds_read_b128 a[28:31], v2 offset:11968                     // 000000008C10: DBFE2EC0 1C000002
	v_mfma_f32_16x16x32_fp8_fp8 v[128:131], a[110:111], a[54:55], v[128:131]// 000000008C18: D3F30080 1E026D6E
	v_mfma_f32_16x16x32_fp8_fp8 v[112:115], a[96:97], a[56:57], v[112:115]// 000000008C20: D3F30070 1DC27160
	v_mfma_f32_16x16x32_fp8_fp8 v[112:115], a[98:99], a[58:59], v[112:115]// 000000008C28: D3F30070 1DC27562
	v_mfma_f32_16x16x32_fp8_fp8 v[112:115], a[100:101], a[60:61], v[112:115]// 000000008C30: D3F30070 1DC27964
	ds_read_b128 a[32:35], v2 offset:12416                     // 000000008C38: DBFE3080 20000002
	ds_read_b128 a[36:39], v2 offset:12480                     // 000000008C40: DBFE30C0 24000002
	v_mfma_f32_16x16x32_fp8_fp8 v[112:115], a[102:103], a[62:63], v[112:115]// 000000008C48: D3F30070 1DC27D66
	v_mfma_f32_16x16x32_fp8_fp8 v[132:135], a[104:105], a[56:57], v[132:135]// 000000008C50: D3F30084 1E127168
	v_mfma_f32_16x16x32_fp8_fp8 v[132:135], a[106:107], a[58:59], v[132:135]// 000000008C58: D3F30084 1E12756A
	v_mfma_f32_16x16x32_fp8_fp8 v[132:135], a[108:109], a[60:61], v[132:135]// 000000008C60: D3F30084 1E12796C
	v_mfma_f32_16x16x32_fp8_fp8 v[132:135], a[110:111], a[62:63], v[132:135]// 000000008C68: D3F30084 1E127D6E
	v_mfma_f32_16x16x32_fp8_fp8 v[116:119], a[96:97], a[64:65], v[116:119]// 000000008C70: D3F30074 1DD28160
	v_mfma_f32_16x16x32_fp8_fp8 v[116:119], a[98:99], a[66:67], v[116:119]// 000000008C78: D3F30074 1DD28562
	v_mfma_f32_16x16x32_fp8_fp8 v[116:119], a[100:101], a[68:69], v[116:119]// 000000008C80: D3F30074 1DD28964
	v_mfma_f32_16x16x32_fp8_fp8 v[116:119], a[102:103], a[70:71], v[116:119]// 000000008C88: D3F30074 1DD28D66
	v_mfma_f32_16x16x32_fp8_fp8 v[136:139], a[104:105], a[64:65], v[136:139]// 000000008C90: D3F30088 1E228168
	v_mfma_f32_16x16x32_fp8_fp8 v[136:139], a[106:107], a[66:67], v[136:139]// 000000008C98: D3F30088 1E22856A
	v_mfma_f32_16x16x32_fp8_fp8 v[136:139], a[108:109], a[68:69], v[136:139]// 000000008CA0: D3F30088 1E22896C
	v_mfma_f32_16x16x32_fp8_fp8 v[136:139], a[110:111], a[70:71], v[136:139]// 000000008CA8: D3F30088 1E228D6E
	v_mfma_f32_16x16x32_fp8_fp8 v[120:123], a[96:97], a[72:73], v[120:123]// 000000008CB0: D3F30078 1DE29160
	s_add_u32 s60, 0x180, s80                                  // 000000008CB8: 803C50FF 00000180
	s_cmp_lt_u32 s60, s81                                      // 000000008CC0: BF0A513C
	s_cselect_b32 s57, s57, 0                                  // 000000008CC4: 85398039
	v_mfma_f32_16x16x32_fp8_fp8 v[120:123], a[98:99], a[74:75], v[120:123]// 000000008CC8: D3F30078 1DE29562
	s_add_u32 s60, 0x100, s80                                  // 000000008CD0: 803C50FF 00000100
	s_cmp_lt_u32 s60, s81                                      // 000000008CD8: BF0A513C
	s_cselect_b32 s58, s58, 0                                  // 000000008CDC: 853A803A
	v_mfma_f32_16x16x32_fp8_fp8 v[120:123], a[100:101], a[76:77], v[120:123]// 000000008CE0: D3F30078 1DE29964
	s_add_u32 s60, 0x100, s80                                  // 000000008CE8: 803C50FF 00000100
	s_cmp_lt_u32 s60, s81                                      // 000000008CF0: BF0A513C
	s_cselect_b32 s83, s83, 0                                  // 000000008CF4: 85538053
	v_mfma_f32_16x16x32_fp8_fp8 v[120:123], a[102:103], a[78:79], v[120:123]// 000000008CF8: D3F30078 1DE29D66
	s_add_u32 s24, s58, s24                                    // 000000008D00: 8018183A
	s_addc_u32 s25, 0, s25                                     // 000000008D04: 82191980
	v_mfma_f32_16x16x32_fp8_fp8 v[140:143], a[104:105], a[72:73], v[140:143]// 000000008D08: D3F3008C 1E329168
	s_add_u32 s20, s57, s20                                    // 000000008D10: 80141439
	s_addc_u32 s21, 0, s21                                     // 000000008D14: 82151580
	v_mfma_f32_16x16x32_fp8_fp8 v[140:143], a[106:107], a[74:75], v[140:143]// 000000008D18: D3F3008C 1E32956A
	s_add_u32 s84, s83, s84                                    // 000000008D20: 80545453
	s_addc_u32 s85, 0, s85                                     // 000000008D24: 82555580
	v_mfma_f32_16x16x32_fp8_fp8 v[140:143], a[108:109], a[76:77], v[140:143]// 000000008D28: D3F3008C 1E32996C
	v_mfma_f32_16x16x32_fp8_fp8 v[140:143], a[110:111], a[78:79], v[140:143]// 000000008D30: D3F3008C 1E329D6E
	s_addk_i32 s80, 0x80                                       // 000000008D38: B7500080
	s_cmp_lt_i32 s80, s81                                      // 000000008D3C: BF045150
	s_cbranch_scc0 label_1ADB                                  // 000000008D40: BF840207
	s_waitcnt vmcnt(14) lgkmcnt(0)                             // 000000008D44: BF8C007E
	v_mfma_f32_16x16x32_fp8_fp8 v[64:67], a[112:113], a[0:1], v[64:67]// 000000008D48: D3F30040 1D020170
	buffer_load_dwordx4 a[96:99], v60, s[24:27], 0 offen       // 000000008D50: E05C1000 8086603C
	v_mfma_f32_16x16x32_fp8_fp8 v[64:67], a[114:115], a[2:3], v[64:67]// 000000008D58: D3F30040 1D020572
	v_mfma_f32_16x16x32_fp8_fp8 v[64:67], a[116:117], a[4:5], v[64:67]// 000000008D60: D3F30040 1D020974
	v_mfma_f32_16x16x32_fp8_fp8 v[64:67], a[118:119], a[6:7], v[64:67]// 000000008D68: D3F30040 1D020D76
	v_mfma_f32_16x16x32_fp8_fp8 v[84:87], a[120:121], a[0:1], v[84:87]// 000000008D70: D3F30054 1D520178
	buffer_load_dwordx4 a[100:103], v60, s[24:27], 0 offen offset:1024// 000000008D78: E05C1400 8086643C
	v_mfma_f32_16x16x32_fp8_fp8 v[84:87], a[122:123], a[2:3], v[84:87]// 000000008D80: D3F30054 1D52057A
	v_mfma_f32_16x16x32_fp8_fp8 v[84:87], a[124:125], a[4:5], v[84:87]// 000000008D88: D3F30054 1D52097C
	v_mfma_f32_16x16x32_fp8_fp8 v[84:87], a[126:127], a[6:7], v[84:87]// 000000008D90: D3F30054 1D520D7E
	v_mfma_f32_16x16x32_fp8_fp8 v[68:71], a[112:113], a[8:9], v[68:71]// 000000008D98: D3F30044 1D121170
	buffer_load_dwordx4 a[104:107], v61, s[24:27], 0 offen     // 000000008DA0: E05C1000 8086683D
	v_mfma_f32_16x16x32_fp8_fp8 v[68:71], a[114:115], a[10:11], v[68:71]// 000000008DA8: D3F30044 1D121572
	v_mfma_f32_16x16x32_fp8_fp8 v[68:71], a[116:117], a[12:13], v[68:71]// 000000008DB0: D3F30044 1D121974
	v_mfma_f32_16x16x32_fp8_fp8 v[68:71], a[118:119], a[14:15], v[68:71]// 000000008DB8: D3F30044 1D121D76
	v_mfma_f32_16x16x32_fp8_fp8 v[88:91], a[120:121], a[8:9], v[88:91]// 000000008DC0: D3F30058 1D621178
	buffer_load_dwordx4 a[108:111], v61, s[24:27], 0 offen offset:1024// 000000008DC8: E05C1400 80866C3D
	buffer_load_dword v50, s[20:23], 0 offen lds               // 000000008DD0: E0511000 80050032
	s_add_u32 m0, 0x100, s48                                   // 000000008DD8: 807C30FF 00000100
	v_mfma_f32_16x16x32_fp8_fp8 v[88:91], a[122:123], a[10:11], v[88:91]// 000000008DE0: D3F30058 1D62157A
	v_mfma_f32_16x16x32_fp8_fp8 v[88:91], a[124:125], a[12:13], v[88:91]// 000000008DE8: D3F30058 1D62197C
	buffer_load_dword v51, s[20:23], 0 offen lds               // 000000008DF0: E0511000 80050033
	s_add_u32 m0, 0x200, s48                                   // 000000008DF8: 807C30FF 00000200
	v_mfma_f32_16x16x32_fp8_fp8 v[88:91], a[126:127], a[14:15], v[88:91]// 000000008E00: D3F30058 1D621D7E
	v_mfma_f32_16x16x32_fp8_fp8 v[72:75], a[112:113], a[16:17], v[72:75]// 000000008E08: D3F30048 1D222170
	buffer_load_dword v52, s[20:23], 0 offen lds               // 000000008E10: E0511000 80050034
	s_add_u32 m0, 0x300, s48                                   // 000000008E18: 807C30FF 00000300
	v_mfma_f32_16x16x32_fp8_fp8 v[72:75], a[114:115], a[18:19], v[72:75]// 000000008E20: D3F30048 1D222572
	v_mfma_f32_16x16x32_fp8_fp8 v[72:75], a[116:117], a[20:21], v[72:75]// 000000008E28: D3F30048 1D222974
	buffer_load_dword v53, s[20:23], 0 offen lds               // 000000008E30: E0511000 80050035
	s_add_u32 m0, 0x400, s48                                   // 000000008E38: 807C30FF 00000400
	v_mfma_f32_16x16x32_fp8_fp8 v[72:75], a[118:119], a[22:23], v[72:75]// 000000008E40: D3F30048 1D222D76
	v_mfma_f32_16x16x32_fp8_fp8 v[92:95], a[120:121], a[16:17], v[92:95]// 000000008E48: D3F3005C 1D722178
	buffer_load_dword v54, s[20:23], 0 offen lds               // 000000008E50: E0511000 80050036
	s_add_u32 m0, 0x500, s48                                   // 000000008E58: 807C30FF 00000500
	v_mfma_f32_16x16x32_fp8_fp8 v[92:95], a[122:123], a[18:19], v[92:95]// 000000008E60: D3F3005C 1D72257A
	v_mfma_f32_16x16x32_fp8_fp8 v[92:95], a[124:125], a[20:21], v[92:95]// 000000008E68: D3F3005C 1D72297C
	buffer_load_dword v55, s[20:23], 0 offen lds               // 000000008E70: E0511000 80050037
	s_add_u32 m0, 0x600, s48                                   // 000000008E78: 807C30FF 00000600
	v_mfma_f32_16x16x32_fp8_fp8 v[92:95], a[126:127], a[22:23], v[92:95]// 000000008E80: D3F3005C 1D722D7E
	v_mfma_f32_16x16x32_fp8_fp8 v[76:79], a[112:113], a[24:25], v[76:79]// 000000008E88: D3F3004C 1D323170
	buffer_load_dword v56, s[20:23], 0 offen lds               // 000000008E90: E0511000 80050038
	s_add_u32 m0, 0x700, s48                                   // 000000008E98: 807C30FF 00000700
	v_mfma_f32_16x16x32_fp8_fp8 v[76:79], a[114:115], a[26:27], v[76:79]// 000000008EA0: D3F3004C 1D323572
	v_mfma_f32_16x16x32_fp8_fp8 v[76:79], a[116:117], a[28:29], v[76:79]// 000000008EA8: D3F3004C 1D323974
	buffer_load_dword v57, s[20:23], 0 offen lds               // 000000008EB0: E0511000 80050039
	s_add_u32 m0, 0x800, s48                                   // 000000008EB8: 807C30FF 00000800
	v_mfma_f32_16x16x32_fp8_fp8 v[76:79], a[118:119], a[30:31], v[76:79]// 000000008EC0: D3F3004C 1D323D76
	v_mfma_f32_16x16x32_fp8_fp8 v[96:99], a[120:121], a[24:25], v[96:99]// 000000008EC8: D3F30060 1D823178
	buffer_load_dword v58, s[20:23], 0 offen lds               // 000000008ED0: E0511000 8005003A
	s_add_u32 m0, 0x900, s48                                   // 000000008ED8: 807C30FF 00000900
	v_mfma_f32_16x16x32_fp8_fp8 v[96:99], a[122:123], a[26:27], v[96:99]// 000000008EE0: D3F30060 1D82357A
	v_mfma_f32_16x16x32_fp8_fp8 v[96:99], a[124:125], a[28:29], v[96:99]// 000000008EE8: D3F30060 1D82397C
	buffer_load_dword v59, s[20:23], 0 offen lds               // 000000008EF0: E0511000 8005003B
	s_add_u32 m0, 0, s49                                       // 000000008EF8: 807C3180
	v_mfma_f32_16x16x32_fp8_fp8 v[96:99], a[126:127], a[30:31], v[96:99]// 000000008EFC: D3F30060 1D823D7E
	v_mfma_f32_16x16x32_fp8_fp8 v[80:83], a[112:113], a[32:33], v[80:83]// 000000008F04: D3F30050 1D424170
	v_mfma_f32_16x16x32_fp8_fp8 v[80:83], a[114:115], a[34:35], v[80:83]// 000000008F0C: D3F30050 1D424572
	v_mfma_f32_16x16x32_fp8_fp8 v[80:83], a[116:117], a[36:37], v[80:83]// 000000008F14: D3F30050 1D424974
	v_mfma_f32_16x16x32_fp8_fp8 v[80:83], a[118:119], a[38:39], v[80:83]// 000000008F1C: D3F30050 1D424D76
	v_mfma_f32_16x16x32_fp8_fp8 v[100:103], a[120:121], a[32:33], v[100:103]// 000000008F24: D3F30064 1D924178
	v_mfma_f32_16x16x32_fp8_fp8 v[100:103], a[122:123], a[34:35], v[100:103]// 000000008F2C: D3F30064 1D92457A
	v_mfma_f32_16x16x32_fp8_fp8 v[100:103], a[124:125], a[36:37], v[100:103]// 000000008F34: D3F30064 1D92497C
	v_mfma_f32_16x16x32_fp8_fp8 v[100:103], a[126:127], a[38:39], v[100:103]// 000000008F3C: D3F30064 1D924D7E
	s_waitcnt vmcnt(14)                                        // 000000008F44: BF8C0F7E
	s_barrier                                                  // 000000008F48: BF8A0000
	v_mfma_f32_16x16x32_fp8_fp8 v[104:107], a[80:81], a[0:1], v[104:107]// 000000008F4C: D3F30068 1DA20150
	buffer_load_dwordx4 a[112:115], v60, s[84:87], 0 offen     // 000000008F54: E05C1000 8095703C
	v_mfma_f32_16x16x32_fp8_fp8 v[104:107], a[82:83], a[2:3], v[104:107]// 000000008F5C: D3F30068 1DA20552
	v_mfma_f32_16x16x32_fp8_fp8 v[104:107], a[84:85], a[4:5], v[104:107]// 000000008F64: D3F30068 1DA20954
	ds_read_b128 a[40:43], v2 offset:20736                     // 000000008F6C: DBFE5100 28000002
	ds_read_b128 a[44:47], v2 offset:20800                     // 000000008F74: DBFE5140 2C000002
	v_mfma_f32_16x16x32_fp8_fp8 v[104:107], a[86:87], a[6:7], v[104:107]// 000000008F7C: D3F30068 1DA20D56
	v_mfma_f32_16x16x32_fp8_fp8 v[124:127], a[88:89], a[0:1], v[124:127]// 000000008F84: D3F3007C 1DF20158
	buffer_load_dwordx4 a[116:119], v60, s[84:87], 0 offen offset:1024// 000000008F8C: E05C1400 8095743C
	v_mfma_f32_16x16x32_fp8_fp8 v[124:127], a[90:91], a[2:3], v[124:127]// 000000008F94: D3F3007C 1DF2055A
	v_mfma_f32_16x16x32_fp8_fp8 v[124:127], a[92:93], a[4:5], v[124:127]// 000000008F9C: D3F3007C 1DF2095C
	ds_read_b128 a[48:51], v2 offset:21248                     // 000000008FA4: DBFE5300 30000002
	ds_read_b128 a[52:55], v2 offset:21312                     // 000000008FAC: DBFE5340 34000002
	v_mfma_f32_16x16x32_fp8_fp8 v[124:127], a[94:95], a[6:7], v[124:127]// 000000008FB4: D3F3007C 1DF20D5E
	v_mfma_f32_16x16x32_fp8_fp8 v[108:111], a[80:81], a[8:9], v[108:111]// 000000008FBC: D3F3006C 1DB21150
	buffer_load_dwordx4 a[120:123], v61, s[84:87], 0 offen     // 000000008FC4: E05C1000 8095783D
	v_mfma_f32_16x16x32_fp8_fp8 v[108:111], a[82:83], a[10:11], v[108:111]// 000000008FCC: D3F3006C 1DB21552
	v_mfma_f32_16x16x32_fp8_fp8 v[108:111], a[84:85], a[12:13], v[108:111]// 000000008FD4: D3F3006C 1DB21954
	ds_read_b128 a[56:59], v2 offset:21760                     // 000000008FDC: DBFE5500 38000002
	ds_read_b128 a[60:63], v2 offset:21824                     // 000000008FE4: DBFE5540 3C000002
	v_mfma_f32_16x16x32_fp8_fp8 v[108:111], a[86:87], a[14:15], v[108:111]// 000000008FEC: D3F3006C 1DB21D56
	v_mfma_f32_16x16x32_fp8_fp8 v[128:131], a[88:89], a[8:9], v[128:131]// 000000008FF4: D3F30080 1E021158
	buffer_load_dwordx4 a[124:127], v61, s[84:87], 0 offen offset:1024// 000000008FFC: E05C1400 80957C3D
	v_mfma_f32_16x16x32_fp8_fp8 v[128:131], a[90:91], a[10:11], v[128:131]// 000000009004: D3F30080 1E02155A
	v_mfma_f32_16x16x32_fp8_fp8 v[128:131], a[92:93], a[12:13], v[128:131]// 00000000900C: D3F30080 1E02195C
	ds_read_b128 a[64:67], v2 offset:22272                     // 000000009014: DBFE5700 40000002
	ds_read_b128 a[68:71], v2 offset:22336                     // 00000000901C: DBFE5740 44000002
	v_mfma_f32_16x16x32_fp8_fp8 v[128:131], a[94:95], a[14:15], v[128:131]// 000000009024: D3F30080 1E021D5E
	v_mfma_f32_16x16x32_fp8_fp8 v[112:115], a[80:81], a[16:17], v[112:115]// 00000000902C: D3F30070 1DC22150
	v_mfma_f32_16x16x32_fp8_fp8 v[112:115], a[82:83], a[18:19], v[112:115]// 000000009034: D3F30070 1DC22552
	v_mfma_f32_16x16x32_fp8_fp8 v[112:115], a[84:85], a[20:21], v[112:115]// 00000000903C: D3F30070 1DC22954
	ds_read_b128 a[72:75], v2 offset:22784                     // 000000009044: DBFE5900 48000002
	ds_read_b128 a[76:79], v2 offset:22848                     // 00000000904C: DBFE5940 4C000002
	v_mfma_f32_16x16x32_fp8_fp8 v[112:115], a[86:87], a[22:23], v[112:115]// 000000009054: D3F30070 1DC22D56
	v_mfma_f32_16x16x32_fp8_fp8 v[132:135], a[88:89], a[16:17], v[132:135]// 00000000905C: D3F30084 1E122158
	v_mfma_f32_16x16x32_fp8_fp8 v[132:135], a[90:91], a[18:19], v[132:135]// 000000009064: D3F30084 1E12255A
	v_mfma_f32_16x16x32_fp8_fp8 v[132:135], a[92:93], a[20:21], v[132:135]// 00000000906C: D3F30084 1E12295C
	v_mfma_f32_16x16x32_fp8_fp8 v[132:135], a[94:95], a[22:23], v[132:135]// 000000009074: D3F30084 1E122D5E
	v_mfma_f32_16x16x32_fp8_fp8 v[116:119], a[80:81], a[24:25], v[116:119]// 00000000907C: D3F30074 1DD23150
	v_mfma_f32_16x16x32_fp8_fp8 v[116:119], a[82:83], a[26:27], v[116:119]// 000000009084: D3F30074 1DD23552
	v_mfma_f32_16x16x32_fp8_fp8 v[116:119], a[84:85], a[28:29], v[116:119]// 00000000908C: D3F30074 1DD23954
	v_mfma_f32_16x16x32_fp8_fp8 v[116:119], a[86:87], a[30:31], v[116:119]// 000000009094: D3F30074 1DD23D56
	v_mfma_f32_16x16x32_fp8_fp8 v[136:139], a[88:89], a[24:25], v[136:139]// 00000000909C: D3F30088 1E223158
	v_mfma_f32_16x16x32_fp8_fp8 v[136:139], a[90:91], a[26:27], v[136:139]// 0000000090A4: D3F30088 1E22355A
	v_mfma_f32_16x16x32_fp8_fp8 v[136:139], a[92:93], a[28:29], v[136:139]// 0000000090AC: D3F30088 1E22395C
	v_mfma_f32_16x16x32_fp8_fp8 v[136:139], a[94:95], a[30:31], v[136:139]// 0000000090B4: D3F30088 1E223D5E
	v_mfma_f32_16x16x32_fp8_fp8 v[120:123], a[80:81], a[32:33], v[120:123]// 0000000090BC: D3F30078 1DE24150
	s_add_u32 s60, 0x180, s80                                  // 0000000090C4: 803C50FF 00000180
	s_cmp_lt_u32 s60, s81                                      // 0000000090CC: BF0A513C
	s_cselect_b32 s57, s57, 0                                  // 0000000090D0: 85398039
	v_mfma_f32_16x16x32_fp8_fp8 v[120:123], a[82:83], a[34:35], v[120:123]// 0000000090D4: D3F30078 1DE24552
	s_add_u32 s60, 0x100, s80                                  // 0000000090DC: 803C50FF 00000100
	s_cmp_lt_u32 s60, s81                                      // 0000000090E4: BF0A513C
	s_cselect_b32 s58, s58, 0                                  // 0000000090E8: 853A803A
	v_mfma_f32_16x16x32_fp8_fp8 v[120:123], a[84:85], a[36:37], v[120:123]// 0000000090EC: D3F30078 1DE24954
	s_add_u32 s60, 0x100, s80                                  // 0000000090F4: 803C50FF 00000100
	s_cmp_lt_u32 s60, s81                                      // 0000000090FC: BF0A513C
	s_cselect_b32 s83, s83, 0                                  // 000000009100: 85538053
	v_mfma_f32_16x16x32_fp8_fp8 v[120:123], a[86:87], a[38:39], v[120:123]// 000000009104: D3F30078 1DE24D56
	s_add_u32 s24, s58, s24                                    // 00000000910C: 8018183A
	s_addc_u32 s25, 0, s25                                     // 000000009110: 82191980
	v_mfma_f32_16x16x32_fp8_fp8 v[140:143], a[88:89], a[32:33], v[140:143]// 000000009114: D3F3008C 1E324158
	s_add_u32 s20, s57, s20                                    // 00000000911C: 80141439
	s_addc_u32 s21, 0, s21                                     // 000000009120: 82151580
	v_mfma_f32_16x16x32_fp8_fp8 v[140:143], a[90:91], a[34:35], v[140:143]// 000000009124: D3F3008C 1E32455A
	s_add_u32 s84, s83, s84                                    // 00000000912C: 80545453
	s_addc_u32 s85, 0, s85                                     // 000000009130: 82555580
	v_mfma_f32_16x16x32_fp8_fp8 v[140:143], a[92:93], a[36:37], v[140:143]// 000000009134: D3F3008C 1E32495C
	v_mfma_f32_16x16x32_fp8_fp8 v[140:143], a[94:95], a[38:39], v[140:143]// 00000000913C: D3F3008C 1E324D5E
	s_addk_i32 s80, 0x80                                       // 000000009144: B7500080
	s_cmp_lt_i32 s80, s81                                      // 000000009148: BF045150
	s_cbranch_scc0 label_1ADB                                  // 00000000914C: BF840104
	s_waitcnt vmcnt(14) lgkmcnt(0)                             // 000000009150: BF8C007E
	v_mfma_f32_16x16x32_fp8_fp8 v[64:67], a[96:97], a[40:41], v[64:67]// 000000009154: D3F30040 1D025160
	buffer_load_dwordx4 a[80:83], v60, s[24:27], 0 offen       // 00000000915C: E05C1000 8086503C
	v_mfma_f32_16x16x32_fp8_fp8 v[64:67], a[98:99], a[42:43], v[64:67]// 000000009164: D3F30040 1D025562
	v_mfma_f32_16x16x32_fp8_fp8 v[64:67], a[100:101], a[44:45], v[64:67]// 00000000916C: D3F30040 1D025964
	v_mfma_f32_16x16x32_fp8_fp8 v[64:67], a[102:103], a[46:47], v[64:67]// 000000009174: D3F30040 1D025D66
	v_mfma_f32_16x16x32_fp8_fp8 v[84:87], a[104:105], a[40:41], v[84:87]// 00000000917C: D3F30054 1D525168
	buffer_load_dwordx4 a[84:87], v60, s[24:27], 0 offen offset:1024// 000000009184: E05C1400 8086543C
	v_mfma_f32_16x16x32_fp8_fp8 v[84:87], a[106:107], a[42:43], v[84:87]// 00000000918C: D3F30054 1D52556A
	v_mfma_f32_16x16x32_fp8_fp8 v[84:87], a[108:109], a[44:45], v[84:87]// 000000009194: D3F30054 1D52596C
	v_mfma_f32_16x16x32_fp8_fp8 v[84:87], a[110:111], a[46:47], v[84:87]// 00000000919C: D3F30054 1D525D6E
	v_mfma_f32_16x16x32_fp8_fp8 v[68:71], a[96:97], a[48:49], v[68:71]// 0000000091A4: D3F30044 1D126160
	buffer_load_dwordx4 a[88:91], v61, s[24:27], 0 offen       // 0000000091AC: E05C1000 8086583D
	v_mfma_f32_16x16x32_fp8_fp8 v[68:71], a[98:99], a[50:51], v[68:71]// 0000000091B4: D3F30044 1D126562
	v_mfma_f32_16x16x32_fp8_fp8 v[68:71], a[100:101], a[52:53], v[68:71]// 0000000091BC: D3F30044 1D126964
	v_mfma_f32_16x16x32_fp8_fp8 v[68:71], a[102:103], a[54:55], v[68:71]// 0000000091C4: D3F30044 1D126D66
	v_mfma_f32_16x16x32_fp8_fp8 v[88:91], a[104:105], a[48:49], v[88:91]// 0000000091CC: D3F30058 1D626168
	buffer_load_dwordx4 a[92:95], v61, s[24:27], 0 offen offset:1024// 0000000091D4: E05C1400 80865C3D
	buffer_load_dword v50, s[20:23], 0 offen lds               // 0000000091DC: E0511000 80050032
	s_add_u32 m0, 0x100, s49                                   // 0000000091E4: 807C31FF 00000100
	v_mfma_f32_16x16x32_fp8_fp8 v[88:91], a[106:107], a[50:51], v[88:91]// 0000000091EC: D3F30058 1D62656A
	v_mfma_f32_16x16x32_fp8_fp8 v[88:91], a[108:109], a[52:53], v[88:91]// 0000000091F4: D3F30058 1D62696C
	buffer_load_dword v51, s[20:23], 0 offen lds               // 0000000091FC: E0511000 80050033
	s_add_u32 m0, 0x200, s49                                   // 000000009204: 807C31FF 00000200
	v_mfma_f32_16x16x32_fp8_fp8 v[88:91], a[110:111], a[54:55], v[88:91]// 00000000920C: D3F30058 1D626D6E
	v_mfma_f32_16x16x32_fp8_fp8 v[72:75], a[96:97], a[56:57], v[72:75]// 000000009214: D3F30048 1D227160
	buffer_load_dword v52, s[20:23], 0 offen lds               // 00000000921C: E0511000 80050034
	s_add_u32 m0, 0x300, s49                                   // 000000009224: 807C31FF 00000300
	v_mfma_f32_16x16x32_fp8_fp8 v[72:75], a[98:99], a[58:59], v[72:75]// 00000000922C: D3F30048 1D227562
	v_mfma_f32_16x16x32_fp8_fp8 v[72:75], a[100:101], a[60:61], v[72:75]// 000000009234: D3F30048 1D227964
	buffer_load_dword v53, s[20:23], 0 offen lds               // 00000000923C: E0511000 80050035
	s_add_u32 m0, 0x400, s49                                   // 000000009244: 807C31FF 00000400
	v_mfma_f32_16x16x32_fp8_fp8 v[72:75], a[102:103], a[62:63], v[72:75]// 00000000924C: D3F30048 1D227D66
	v_mfma_f32_16x16x32_fp8_fp8 v[92:95], a[104:105], a[56:57], v[92:95]// 000000009254: D3F3005C 1D727168
	buffer_load_dword v54, s[20:23], 0 offen lds               // 00000000925C: E0511000 80050036
	s_add_u32 m0, 0x500, s49                                   // 000000009264: 807C31FF 00000500
	v_mfma_f32_16x16x32_fp8_fp8 v[92:95], a[106:107], a[58:59], v[92:95]// 00000000926C: D3F3005C 1D72756A
	v_mfma_f32_16x16x32_fp8_fp8 v[92:95], a[108:109], a[60:61], v[92:95]// 000000009274: D3F3005C 1D72796C
	buffer_load_dword v55, s[20:23], 0 offen lds               // 00000000927C: E0511000 80050037
	s_add_u32 m0, 0x600, s49                                   // 000000009284: 807C31FF 00000600
	v_mfma_f32_16x16x32_fp8_fp8 v[92:95], a[110:111], a[62:63], v[92:95]// 00000000928C: D3F3005C 1D727D6E
	v_mfma_f32_16x16x32_fp8_fp8 v[76:79], a[96:97], a[64:65], v[76:79]// 000000009294: D3F3004C 1D328160
	buffer_load_dword v56, s[20:23], 0 offen lds               // 00000000929C: E0511000 80050038
	s_add_u32 m0, 0x700, s49                                   // 0000000092A4: 807C31FF 00000700
	v_mfma_f32_16x16x32_fp8_fp8 v[76:79], a[98:99], a[66:67], v[76:79]// 0000000092AC: D3F3004C 1D328562
	v_mfma_f32_16x16x32_fp8_fp8 v[76:79], a[100:101], a[68:69], v[76:79]// 0000000092B4: D3F3004C 1D328964
	buffer_load_dword v57, s[20:23], 0 offen lds               // 0000000092BC: E0511000 80050039
	s_add_u32 m0, 0x800, s49                                   // 0000000092C4: 807C31FF 00000800
	v_mfma_f32_16x16x32_fp8_fp8 v[76:79], a[102:103], a[70:71], v[76:79]// 0000000092CC: D3F3004C 1D328D66
	v_mfma_f32_16x16x32_fp8_fp8 v[96:99], a[104:105], a[64:65], v[96:99]// 0000000092D4: D3F30060 1D828168
	buffer_load_dword v58, s[20:23], 0 offen lds               // 0000000092DC: E0511000 8005003A
	s_add_u32 m0, 0x900, s49                                   // 0000000092E4: 807C31FF 00000900
	v_mfma_f32_16x16x32_fp8_fp8 v[96:99], a[106:107], a[66:67], v[96:99]// 0000000092EC: D3F30060 1D82856A
	v_mfma_f32_16x16x32_fp8_fp8 v[96:99], a[108:109], a[68:69], v[96:99]// 0000000092F4: D3F30060 1D82896C
	buffer_load_dword v59, s[20:23], 0 offen lds               // 0000000092FC: E0511000 8005003B
	s_add_u32 m0, 0, s50                                       // 000000009304: 807C3280
	v_mfma_f32_16x16x32_fp8_fp8 v[96:99], a[110:111], a[70:71], v[96:99]// 000000009308: D3F30060 1D828D6E
	v_mfma_f32_16x16x32_fp8_fp8 v[80:83], a[96:97], a[72:73], v[80:83]// 000000009310: D3F30050 1D429160
	v_mfma_f32_16x16x32_fp8_fp8 v[80:83], a[98:99], a[74:75], v[80:83]// 000000009318: D3F30050 1D429562
	v_mfma_f32_16x16x32_fp8_fp8 v[80:83], a[100:101], a[76:77], v[80:83]// 000000009320: D3F30050 1D429964
	v_mfma_f32_16x16x32_fp8_fp8 v[80:83], a[102:103], a[78:79], v[80:83]// 000000009328: D3F30050 1D429D66
	v_mfma_f32_16x16x32_fp8_fp8 v[100:103], a[104:105], a[72:73], v[100:103]// 000000009330: D3F30064 1D929168
	v_mfma_f32_16x16x32_fp8_fp8 v[100:103], a[106:107], a[74:75], v[100:103]// 000000009338: D3F30064 1D92956A
	v_mfma_f32_16x16x32_fp8_fp8 v[100:103], a[108:109], a[76:77], v[100:103]// 000000009340: D3F30064 1D92996C
	v_mfma_f32_16x16x32_fp8_fp8 v[100:103], a[110:111], a[78:79], v[100:103]// 000000009348: D3F30064 1D929D6E
	s_waitcnt vmcnt(14)                                        // 000000009350: BF8C0F7E
	s_barrier                                                  // 000000009354: BF8A0000
	v_mfma_f32_16x16x32_fp8_fp8 v[104:107], a[112:113], a[40:41], v[104:107]// 000000009358: D3F30068 1DA25170
	buffer_load_dwordx4 a[96:99], v60, s[84:87], 0 offen       // 000000009360: E05C1000 8095603C
	v_mfma_f32_16x16x32_fp8_fp8 v[104:107], a[114:115], a[42:43], v[104:107]// 000000009368: D3F30068 1DA25572
	v_mfma_f32_16x16x32_fp8_fp8 v[104:107], a[116:117], a[44:45], v[104:107]// 000000009370: D3F30068 1DA25974
	ds_read_b128 a[0:3], v2                                    // 000000009378: DBFE0000 00000002
	ds_read_b128 a[4:7], v2 offset:64                          // 000000009380: DBFE0040 04000002
	v_mfma_f32_16x16x32_fp8_fp8 v[104:107], a[118:119], a[46:47], v[104:107]// 000000009388: D3F30068 1DA25D76
	v_mfma_f32_16x16x32_fp8_fp8 v[124:127], a[120:121], a[40:41], v[124:127]// 000000009390: D3F3007C 1DF25178
	buffer_load_dwordx4 a[100:103], v60, s[84:87], 0 offen offset:1024// 000000009398: E05C1400 8095643C
	v_mfma_f32_16x16x32_fp8_fp8 v[124:127], a[122:123], a[42:43], v[124:127]// 0000000093A0: D3F3007C 1DF2557A
	v_mfma_f32_16x16x32_fp8_fp8 v[124:127], a[124:125], a[44:45], v[124:127]// 0000000093A8: D3F3007C 1DF2597C
	ds_read_b128 a[8:11], v2 offset:512                        // 0000000093B0: DBFE0200 08000002
	ds_read_b128 a[12:15], v2 offset:576                       // 0000000093B8: DBFE0240 0C000002
	v_mfma_f32_16x16x32_fp8_fp8 v[124:127], a[126:127], a[46:47], v[124:127]// 0000000093C0: D3F3007C 1DF25D7E
	v_mfma_f32_16x16x32_fp8_fp8 v[108:111], a[112:113], a[48:49], v[108:111]// 0000000093C8: D3F3006C 1DB26170
	buffer_load_dwordx4 a[104:107], v61, s[84:87], 0 offen     // 0000000093D0: E05C1000 8095683D
	v_mfma_f32_16x16x32_fp8_fp8 v[108:111], a[114:115], a[50:51], v[108:111]// 0000000093D8: D3F3006C 1DB26572
	v_mfma_f32_16x16x32_fp8_fp8 v[108:111], a[116:117], a[52:53], v[108:111]// 0000000093E0: D3F3006C 1DB26974
	ds_read_b128 a[16:19], v2 offset:1024                      // 0000000093E8: DBFE0400 10000002
	ds_read_b128 a[20:23], v2 offset:1088                      // 0000000093F0: DBFE0440 14000002
	v_mfma_f32_16x16x32_fp8_fp8 v[108:111], a[118:119], a[54:55], v[108:111]// 0000000093F8: D3F3006C 1DB26D76
	v_mfma_f32_16x16x32_fp8_fp8 v[128:131], a[120:121], a[48:49], v[128:131]// 000000009400: D3F30080 1E026178
	buffer_load_dwordx4 a[108:111], v61, s[84:87], 0 offen offset:1024// 000000009408: E05C1400 80956C3D
	v_mfma_f32_16x16x32_fp8_fp8 v[128:131], a[122:123], a[50:51], v[128:131]// 000000009410: D3F30080 1E02657A
	v_mfma_f32_16x16x32_fp8_fp8 v[128:131], a[124:125], a[52:53], v[128:131]// 000000009418: D3F30080 1E02697C
	ds_read_b128 a[24:27], v2 offset:1536                      // 000000009420: DBFE0600 18000002
	ds_read_b128 a[28:31], v2 offset:1600                      // 000000009428: DBFE0640 1C000002
	v_mfma_f32_16x16x32_fp8_fp8 v[128:131], a[126:127], a[54:55], v[128:131]// 000000009430: D3F30080 1E026D7E
	v_mfma_f32_16x16x32_fp8_fp8 v[112:115], a[112:113], a[56:57], v[112:115]// 000000009438: D3F30070 1DC27170
	v_mfma_f32_16x16x32_fp8_fp8 v[112:115], a[114:115], a[58:59], v[112:115]// 000000009440: D3F30070 1DC27572
	v_mfma_f32_16x16x32_fp8_fp8 v[112:115], a[116:117], a[60:61], v[112:115]// 000000009448: D3F30070 1DC27974
	ds_read_b128 a[32:35], v2 offset:2048                      // 000000009450: DBFE0800 20000002
	ds_read_b128 a[36:39], v2 offset:2112                      // 000000009458: DBFE0840 24000002
	v_mfma_f32_16x16x32_fp8_fp8 v[112:115], a[118:119], a[62:63], v[112:115]// 000000009460: D3F30070 1DC27D76
	v_mfma_f32_16x16x32_fp8_fp8 v[132:135], a[120:121], a[56:57], v[132:135]// 000000009468: D3F30084 1E127178
	v_mfma_f32_16x16x32_fp8_fp8 v[132:135], a[122:123], a[58:59], v[132:135]// 000000009470: D3F30084 1E12757A
	v_mfma_f32_16x16x32_fp8_fp8 v[132:135], a[124:125], a[60:61], v[132:135]// 000000009478: D3F30084 1E12797C
	v_mfma_f32_16x16x32_fp8_fp8 v[132:135], a[126:127], a[62:63], v[132:135]// 000000009480: D3F30084 1E127D7E
	v_mfma_f32_16x16x32_fp8_fp8 v[116:119], a[112:113], a[64:65], v[116:119]// 000000009488: D3F30074 1DD28170
	v_mfma_f32_16x16x32_fp8_fp8 v[116:119], a[114:115], a[66:67], v[116:119]// 000000009490: D3F30074 1DD28572
	v_mfma_f32_16x16x32_fp8_fp8 v[116:119], a[116:117], a[68:69], v[116:119]// 000000009498: D3F30074 1DD28974
	v_mfma_f32_16x16x32_fp8_fp8 v[116:119], a[118:119], a[70:71], v[116:119]// 0000000094A0: D3F30074 1DD28D76
	v_mfma_f32_16x16x32_fp8_fp8 v[136:139], a[120:121], a[64:65], v[136:139]// 0000000094A8: D3F30088 1E228178
	v_mfma_f32_16x16x32_fp8_fp8 v[136:139], a[122:123], a[66:67], v[136:139]// 0000000094B0: D3F30088 1E22857A
	v_mfma_f32_16x16x32_fp8_fp8 v[136:139], a[124:125], a[68:69], v[136:139]// 0000000094B8: D3F30088 1E22897C
	v_mfma_f32_16x16x32_fp8_fp8 v[136:139], a[126:127], a[70:71], v[136:139]// 0000000094C0: D3F30088 1E228D7E
	v_mfma_f32_16x16x32_fp8_fp8 v[120:123], a[112:113], a[72:73], v[120:123]// 0000000094C8: D3F30078 1DE29170
	s_add_u32 s60, 0x180, s80                                  // 0000000094D0: 803C50FF 00000180
	s_cmp_lt_u32 s60, s81                                      // 0000000094D8: BF0A513C
	s_cselect_b32 s57, s57, 0                                  // 0000000094DC: 85398039
	v_mfma_f32_16x16x32_fp8_fp8 v[120:123], a[114:115], a[74:75], v[120:123]// 0000000094E0: D3F30078 1DE29572
	s_add_u32 s60, 0x100, s80                                  // 0000000094E8: 803C50FF 00000100
	s_cmp_lt_u32 s60, s81                                      // 0000000094F0: BF0A513C
	s_cselect_b32 s58, s58, 0                                  // 0000000094F4: 853A803A
	v_mfma_f32_16x16x32_fp8_fp8 v[120:123], a[116:117], a[76:77], v[120:123]// 0000000094F8: D3F30078 1DE29974
	s_add_u32 s60, 0x100, s80                                  // 000000009500: 803C50FF 00000100
	s_cmp_lt_u32 s60, s81                                      // 000000009508: BF0A513C
	s_cselect_b32 s83, s83, 0                                  // 00000000950C: 85538053
	v_mfma_f32_16x16x32_fp8_fp8 v[120:123], a[118:119], a[78:79], v[120:123]// 000000009510: D3F30078 1DE29D76
	s_add_u32 s24, s58, s24                                    // 000000009518: 8018183A
	s_addc_u32 s25, 0, s25                                     // 00000000951C: 82191980
	v_mfma_f32_16x16x32_fp8_fp8 v[140:143], a[120:121], a[72:73], v[140:143]// 000000009520: D3F3008C 1E329178
	s_add_u32 s20, s57, s20                                    // 000000009528: 80141439
	s_addc_u32 s21, 0, s21                                     // 00000000952C: 82151580
	v_mfma_f32_16x16x32_fp8_fp8 v[140:143], a[122:123], a[74:75], v[140:143]// 000000009530: D3F3008C 1E32957A
	s_add_u32 s84, s83, s84                                    // 000000009538: 80545453
	s_addc_u32 s85, 0, s85                                     // 00000000953C: 82555580
	v_mfma_f32_16x16x32_fp8_fp8 v[140:143], a[124:125], a[76:77], v[140:143]// 000000009540: D3F3008C 1E32997C
	v_mfma_f32_16x16x32_fp8_fp8 v[140:143], a[126:127], a[78:79], v[140:143]// 000000009548: D3F3008C 1E329D7E
	s_addk_i32 s80, 0x80                                       // 000000009550: B7500080
	s_cmp_lt_i32 s80, s81                                      // 000000009554: BF045150
	s_cbranch_scc0 label_1ADB                                  // 000000009558: BF840001
	s_branch label_14C8                                        // 00000000955C: BF82F9ED

0000000000009560 <label_1ADB>:
	v_mul_f32_dpp v64, v24, v64 row_newbcast:0 row_mask:0xf bank_mask:0xf// 000000009560: 0A8080FA FF015018
	v_mul_f32_dpp v65, v24, v65 row_newbcast:1 row_mask:0xf bank_mask:0xf// 000000009568: 0A8282FA FF015118
	v_mul_f32_dpp v66, v24, v66 row_newbcast:2 row_mask:0xf bank_mask:0xf// 000000009570: 0A8484FA FF015218
	v_mul_f32_dpp v67, v24, v67 row_newbcast:3 row_mask:0xf bank_mask:0xf// 000000009578: 0A8686FA FF015318
	v_mul_f32_dpp v68, v24, v68 row_newbcast:0 row_mask:0xf bank_mask:0xf// 000000009580: 0A8888FA FF015018
	v_mul_f32_dpp v69, v24, v69 row_newbcast:1 row_mask:0xf bank_mask:0xf// 000000009588: 0A8A8AFA FF015118
	v_mul_f32_dpp v70, v24, v70 row_newbcast:2 row_mask:0xf bank_mask:0xf// 000000009590: 0A8C8CFA FF015218
	v_mul_f32_dpp v71, v24, v71 row_newbcast:3 row_mask:0xf bank_mask:0xf// 000000009598: 0A8E8EFA FF015318
	v_mul_f32_dpp v72, v24, v72 row_newbcast:0 row_mask:0xf bank_mask:0xf// 0000000095A0: 0A9090FA FF015018
	v_mul_f32_dpp v73, v24, v73 row_newbcast:1 row_mask:0xf bank_mask:0xf// 0000000095A8: 0A9292FA FF015118
	v_mul_f32_dpp v74, v24, v74 row_newbcast:2 row_mask:0xf bank_mask:0xf// 0000000095B0: 0A9494FA FF015218
	v_mul_f32_dpp v75, v24, v75 row_newbcast:3 row_mask:0xf bank_mask:0xf// 0000000095B8: 0A9696FA FF015318
	v_mul_f32_dpp v76, v24, v76 row_newbcast:0 row_mask:0xf bank_mask:0xf// 0000000095C0: 0A9898FA FF015018
	v_mul_f32_dpp v77, v24, v77 row_newbcast:1 row_mask:0xf bank_mask:0xf// 0000000095C8: 0A9A9AFA FF015118
	v_mul_f32_dpp v78, v24, v78 row_newbcast:2 row_mask:0xf bank_mask:0xf// 0000000095D0: 0A9C9CFA FF015218
	v_mul_f32_dpp v79, v24, v79 row_newbcast:3 row_mask:0xf bank_mask:0xf// 0000000095D8: 0A9E9EFA FF015318
	v_mul_f32_dpp v80, v24, v80 row_newbcast:0 row_mask:0xf bank_mask:0xf// 0000000095E0: 0AA0A0FA FF015018
	v_mul_f32_dpp v81, v24, v81 row_newbcast:1 row_mask:0xf bank_mask:0xf// 0000000095E8: 0AA2A2FA FF015118
	v_mul_f32_dpp v82, v24, v82 row_newbcast:2 row_mask:0xf bank_mask:0xf// 0000000095F0: 0AA4A4FA FF015218
	v_mul_f32_dpp v83, v24, v83 row_newbcast:3 row_mask:0xf bank_mask:0xf// 0000000095F8: 0AA6A6FA FF015318
	v_mul_f32_dpp v84, v24, v84 row_newbcast:4 row_mask:0xf bank_mask:0xf// 000000009600: 0AA8A8FA FF015418
	v_mul_f32_dpp v85, v24, v85 row_newbcast:5 row_mask:0xf bank_mask:0xf// 000000009608: 0AAAAAFA FF015518
	v_mul_f32_dpp v86, v24, v86 row_newbcast:6 row_mask:0xf bank_mask:0xf// 000000009610: 0AACACFA FF015618
	v_mul_f32_dpp v87, v24, v87 row_newbcast:7 row_mask:0xf bank_mask:0xf// 000000009618: 0AAEAEFA FF015718
	v_mul_f32_dpp v88, v24, v88 row_newbcast:4 row_mask:0xf bank_mask:0xf// 000000009620: 0AB0B0FA FF015418
	v_mul_f32_dpp v89, v24, v89 row_newbcast:5 row_mask:0xf bank_mask:0xf// 000000009628: 0AB2B2FA FF015518
	v_mul_f32_dpp v90, v24, v90 row_newbcast:6 row_mask:0xf bank_mask:0xf// 000000009630: 0AB4B4FA FF015618
	v_mul_f32_dpp v91, v24, v91 row_newbcast:7 row_mask:0xf bank_mask:0xf// 000000009638: 0AB6B6FA FF015718
	v_mul_f32_dpp v92, v24, v92 row_newbcast:4 row_mask:0xf bank_mask:0xf// 000000009640: 0AB8B8FA FF015418
	v_mul_f32_dpp v93, v24, v93 row_newbcast:5 row_mask:0xf bank_mask:0xf// 000000009648: 0ABABAFA FF015518
	v_mul_f32_dpp v94, v24, v94 row_newbcast:6 row_mask:0xf bank_mask:0xf// 000000009650: 0ABCBCFA FF015618
	v_mul_f32_dpp v95, v24, v95 row_newbcast:7 row_mask:0xf bank_mask:0xf// 000000009658: 0ABEBEFA FF015718
	v_mul_f32_dpp v96, v24, v96 row_newbcast:4 row_mask:0xf bank_mask:0xf// 000000009660: 0AC0C0FA FF015418
	v_mul_f32_dpp v97, v24, v97 row_newbcast:5 row_mask:0xf bank_mask:0xf// 000000009668: 0AC2C2FA FF015518
	v_mul_f32_dpp v98, v24, v98 row_newbcast:6 row_mask:0xf bank_mask:0xf// 000000009670: 0AC4C4FA FF015618
	v_mul_f32_dpp v99, v24, v99 row_newbcast:7 row_mask:0xf bank_mask:0xf// 000000009678: 0AC6C6FA FF015718
	v_mul_f32_dpp v100, v24, v100 row_newbcast:4 row_mask:0xf bank_mask:0xf// 000000009680: 0AC8C8FA FF015418
	v_mul_f32_dpp v101, v24, v101 row_newbcast:5 row_mask:0xf bank_mask:0xf// 000000009688: 0ACACAFA FF015518
	v_mul_f32_dpp v102, v24, v102 row_newbcast:6 row_mask:0xf bank_mask:0xf// 000000009690: 0ACCCCFA FF015618
	v_mul_f32_dpp v103, v24, v103 row_newbcast:7 row_mask:0xf bank_mask:0xf// 000000009698: 0ACECEFA FF015718
	v_mul_f32_dpp v104, v27, v104 row_newbcast:0 row_mask:0xf bank_mask:0xf// 0000000096A0: 0AD0D0FA FF01501B
	v_mul_f32_dpp v105, v27, v105 row_newbcast:1 row_mask:0xf bank_mask:0xf// 0000000096A8: 0AD2D2FA FF01511B
	v_mul_f32_dpp v106, v27, v106 row_newbcast:2 row_mask:0xf bank_mask:0xf// 0000000096B0: 0AD4D4FA FF01521B
	v_mul_f32_dpp v107, v27, v107 row_newbcast:3 row_mask:0xf bank_mask:0xf// 0000000096B8: 0AD6D6FA FF01531B
	v_mul_f32_dpp v108, v27, v108 row_newbcast:0 row_mask:0xf bank_mask:0xf// 0000000096C0: 0AD8D8FA FF01501B
	v_mul_f32_dpp v109, v27, v109 row_newbcast:1 row_mask:0xf bank_mask:0xf// 0000000096C8: 0ADADAFA FF01511B
	v_mul_f32_dpp v110, v27, v110 row_newbcast:2 row_mask:0xf bank_mask:0xf// 0000000096D0: 0ADCDCFA FF01521B
	v_mul_f32_dpp v111, v27, v111 row_newbcast:3 row_mask:0xf bank_mask:0xf// 0000000096D8: 0ADEDEFA FF01531B
	v_mul_f32_dpp v112, v27, v112 row_newbcast:0 row_mask:0xf bank_mask:0xf// 0000000096E0: 0AE0E0FA FF01501B
	v_mul_f32_dpp v113, v27, v113 row_newbcast:1 row_mask:0xf bank_mask:0xf// 0000000096E8: 0AE2E2FA FF01511B
	v_mul_f32_dpp v114, v27, v114 row_newbcast:2 row_mask:0xf bank_mask:0xf// 0000000096F0: 0AE4E4FA FF01521B
	v_mul_f32_dpp v115, v27, v115 row_newbcast:3 row_mask:0xf bank_mask:0xf// 0000000096F8: 0AE6E6FA FF01531B
	v_mul_f32_dpp v116, v27, v116 row_newbcast:0 row_mask:0xf bank_mask:0xf// 000000009700: 0AE8E8FA FF01501B
	v_mul_f32_dpp v117, v27, v117 row_newbcast:1 row_mask:0xf bank_mask:0xf// 000000009708: 0AEAEAFA FF01511B
	v_mul_f32_dpp v118, v27, v118 row_newbcast:2 row_mask:0xf bank_mask:0xf// 000000009710: 0AECECFA FF01521B
	v_mul_f32_dpp v119, v27, v119 row_newbcast:3 row_mask:0xf bank_mask:0xf// 000000009718: 0AEEEEFA FF01531B
	v_mul_f32_dpp v120, v27, v120 row_newbcast:0 row_mask:0xf bank_mask:0xf// 000000009720: 0AF0F0FA FF01501B
	v_mul_f32_dpp v121, v27, v121 row_newbcast:1 row_mask:0xf bank_mask:0xf// 000000009728: 0AF2F2FA FF01511B
	v_mul_f32_dpp v122, v27, v122 row_newbcast:2 row_mask:0xf bank_mask:0xf// 000000009730: 0AF4F4FA FF01521B
	v_mul_f32_dpp v123, v27, v123 row_newbcast:3 row_mask:0xf bank_mask:0xf// 000000009738: 0AF6F6FA FF01531B
	v_mul_f32_dpp v124, v27, v124 row_newbcast:4 row_mask:0xf bank_mask:0xf// 000000009740: 0AF8F8FA FF01541B
	v_mul_f32_dpp v125, v27, v125 row_newbcast:5 row_mask:0xf bank_mask:0xf// 000000009748: 0AFAFAFA FF01551B
	v_mul_f32_dpp v126, v27, v126 row_newbcast:6 row_mask:0xf bank_mask:0xf// 000000009750: 0AFCFCFA FF01561B
	v_mul_f32_dpp v127, v27, v127 row_newbcast:7 row_mask:0xf bank_mask:0xf// 000000009758: 0AFEFEFA FF01571B
	v_mul_f32_dpp v128, v27, v128 row_newbcast:4 row_mask:0xf bank_mask:0xf// 000000009760: 0B0100FA FF01541B
	v_mul_f32_dpp v129, v27, v129 row_newbcast:5 row_mask:0xf bank_mask:0xf// 000000009768: 0B0302FA FF01551B
	v_mul_f32_dpp v130, v27, v130 row_newbcast:6 row_mask:0xf bank_mask:0xf// 000000009770: 0B0504FA FF01561B
	v_mul_f32_dpp v131, v27, v131 row_newbcast:7 row_mask:0xf bank_mask:0xf// 000000009778: 0B0706FA FF01571B
	v_mul_f32_dpp v132, v27, v132 row_newbcast:4 row_mask:0xf bank_mask:0xf// 000000009780: 0B0908FA FF01541B
	v_mul_f32_dpp v133, v27, v133 row_newbcast:5 row_mask:0xf bank_mask:0xf// 000000009788: 0B0B0AFA FF01551B
	v_mul_f32_dpp v134, v27, v134 row_newbcast:6 row_mask:0xf bank_mask:0xf// 000000009790: 0B0D0CFA FF01561B
	v_mul_f32_dpp v135, v27, v135 row_newbcast:7 row_mask:0xf bank_mask:0xf// 000000009798: 0B0F0EFA FF01571B
	v_mul_f32_dpp v136, v27, v136 row_newbcast:4 row_mask:0xf bank_mask:0xf// 0000000097A0: 0B1110FA FF01541B
	v_mul_f32_dpp v137, v27, v137 row_newbcast:5 row_mask:0xf bank_mask:0xf// 0000000097A8: 0B1312FA FF01551B
	v_mul_f32_dpp v138, v27, v138 row_newbcast:6 row_mask:0xf bank_mask:0xf// 0000000097B0: 0B1514FA FF01561B
	v_mul_f32_dpp v139, v27, v139 row_newbcast:7 row_mask:0xf bank_mask:0xf// 0000000097B8: 0B1716FA FF01571B
	v_mul_f32_dpp v140, v27, v140 row_newbcast:4 row_mask:0xf bank_mask:0xf// 0000000097C0: 0B1918FA FF01541B
	v_mul_f32_dpp v141, v27, v141 row_newbcast:5 row_mask:0xf bank_mask:0xf// 0000000097C8: 0B1B1AFA FF01551B
	v_mul_f32_dpp v142, v27, v142 row_newbcast:6 row_mask:0xf bank_mask:0xf// 0000000097D0: 0B1D1CFA FF01561B
	v_mul_f32_dpp v143, v27, v143 row_newbcast:7 row_mask:0xf bank_mask:0xf// 0000000097D8: 0B1F1EFA FF01571B
	v_mov_b32_e32 v4, v35                                      // 0000000097E0: 7E080323
	v_mov_b32_e32 v5, v4                                       // 0000000097E4: 7E0A0304
	v_pk_mul_f32 v[64:65], v[4:5], v[64:65]                    // 0000000097E8: D3B14040 18028104
	v_pk_mul_f32 v[104:105], v[4:5], v[104:105]                // 0000000097F0: D3B14068 1802D104
	v_pk_mul_f32 v[66:67], v[4:5], v[66:67]                    // 0000000097F8: D3B14042 18028504
	v_pk_mul_f32 v[106:107], v[4:5], v[106:107]                // 000000009800: D3B1406A 1802D504
	v_pk_mul_f32 v[84:85], v[4:5], v[84:85]                    // 000000009808: D3B14054 1802A904
	v_pk_mul_f32 v[124:125], v[4:5], v[124:125]                // 000000009810: D3B1407C 1802F904
	v_pk_mul_f32 v[86:87], v[4:5], v[86:87]                    // 000000009818: D3B14056 1802AD04
	v_pk_mul_f32 v[126:127], v[4:5], v[126:127]                // 000000009820: D3B1407E 1802FD04
	v_mov_b32_e32 v4, v36                                      // 000000009828: 7E080324
	v_mov_b32_e32 v5, v4                                       // 00000000982C: 7E0A0304
	v_pk_mul_f32 v[68:69], v[4:5], v[68:69]                    // 000000009830: D3B14044 18028904
	v_pk_mul_f32 v[108:109], v[4:5], v[108:109]                // 000000009838: D3B1406C 1802D904
	v_pk_mul_f32 v[70:71], v[4:5], v[70:71]                    // 000000009840: D3B14046 18028D04
	v_pk_mul_f32 v[110:111], v[4:5], v[110:111]                // 000000009848: D3B1406E 1802DD04
	v_pk_mul_f32 v[88:89], v[4:5], v[88:89]                    // 000000009850: D3B14058 1802B104
	v_pk_mul_f32 v[128:129], v[4:5], v[128:129]                // 000000009858: D3B14080 18030104
	v_pk_mul_f32 v[90:91], v[4:5], v[90:91]                    // 000000009860: D3B1405A 1802B504
	v_pk_mul_f32 v[130:131], v[4:5], v[130:131]                // 000000009868: D3B14082 18030504
	v_mov_b32_e32 v4, v37                                      // 000000009870: 7E080325
	v_mov_b32_e32 v5, v4                                       // 000000009874: 7E0A0304
	v_pk_mul_f32 v[72:73], v[4:5], v[72:73]                    // 000000009878: D3B14048 18029104
	v_pk_mul_f32 v[112:113], v[4:5], v[112:113]                // 000000009880: D3B14070 1802E104
	v_pk_mul_f32 v[74:75], v[4:5], v[74:75]                    // 000000009888: D3B1404A 18029504
	v_pk_mul_f32 v[114:115], v[4:5], v[114:115]                // 000000009890: D3B14072 1802E504
	v_pk_mul_f32 v[92:93], v[4:5], v[92:93]                    // 000000009898: D3B1405C 1802B904
	v_pk_mul_f32 v[132:133], v[4:5], v[132:133]                // 0000000098A0: D3B14084 18030904
	v_pk_mul_f32 v[94:95], v[4:5], v[94:95]                    // 0000000098A8: D3B1405E 1802BD04
	v_pk_mul_f32 v[134:135], v[4:5], v[134:135]                // 0000000098B0: D3B14086 18030D04
	v_mov_b32_e32 v4, v38                                      // 0000000098B8: 7E080326
	v_mov_b32_e32 v5, v4                                       // 0000000098BC: 7E0A0304
	v_pk_mul_f32 v[76:77], v[4:5], v[76:77]                    // 0000000098C0: D3B1404C 18029904
	v_pk_mul_f32 v[116:117], v[4:5], v[116:117]                // 0000000098C8: D3B14074 1802E904
	v_pk_mul_f32 v[78:79], v[4:5], v[78:79]                    // 0000000098D0: D3B1404E 18029D04
	v_pk_mul_f32 v[118:119], v[4:5], v[118:119]                // 0000000098D8: D3B14076 1802ED04
	v_pk_mul_f32 v[96:97], v[4:5], v[96:97]                    // 0000000098E0: D3B14060 1802C104
	v_pk_mul_f32 v[136:137], v[4:5], v[136:137]                // 0000000098E8: D3B14088 18031104
	v_pk_mul_f32 v[98:99], v[4:5], v[98:99]                    // 0000000098F0: D3B14062 1802C504
	v_pk_mul_f32 v[138:139], v[4:5], v[138:139]                // 0000000098F8: D3B1408A 18031504
	v_mov_b32_e32 v4, v39                                      // 000000009900: 7E080327
	v_mov_b32_e32 v5, v4                                       // 000000009904: 7E0A0304
	v_pk_mul_f32 v[80:81], v[4:5], v[80:81]                    // 000000009908: D3B14050 1802A104
	v_pk_mul_f32 v[120:121], v[4:5], v[120:121]                // 000000009910: D3B14078 1802F104
	v_pk_mul_f32 v[82:83], v[4:5], v[82:83]                    // 000000009918: D3B14052 1802A504
	v_pk_mul_f32 v[122:123], v[4:5], v[122:123]                // 000000009920: D3B1407A 1802F504
	v_pk_mul_f32 v[100:101], v[4:5], v[100:101]                // 000000009928: D3B14064 1802C904
	v_pk_mul_f32 v[140:141], v[4:5], v[140:141]                // 000000009930: D3B1408C 18031904
	v_pk_mul_f32 v[102:103], v[4:5], v[102:103]                // 000000009938: D3B14066 1802CD04
	v_pk_mul_f32 v[142:143], v[4:5], v[142:143]                // 000000009940: D3B1408E 18031D04
	s_cmp_eq_u32 s88, 0                                        // 000000009948: BF068058
	s_cbranch_scc0 label_21C0                                  // 00000000994C: BF8405E9
	s_cmp_eq_u32 s89, 0                                        // 000000009950: BF068059
	s_cbranch_scc1 label_1D6E                                  // 000000009954: BF850195
	v_mov_b32_e32 v8, v1                                       // 000000009958: 7E100301
	v_mov_b32_e32 v9, v1                                       // 00000000995C: 7E120301
	s_mov_b32 s60, s6                                          // 000000009960: BEBC0006
	s_mov_b32 s61, s6                                          // 000000009964: BEBD0006
	v_pk_mul_f32 v[4:5], v[64:65], v[64:65]                    // 000000009968: D3B14004 18028140
	v_pk_mul_f32 v[6:7], v[66:67], v[66:67]                    // 000000009970: D3B14006 18028542
	v_pk_fma_f32 v[4:5], v[4:5], s[78:79], v[8:9]              // 000000009978: D3B04004 1C209D04
	v_pk_fma_f32 v[6:7], v[6:7], s[78:79], v[8:9]              // 000000009980: D3B04006 1C209D06
	v_pk_mul_f32 v[4:5], v[4:5], v[64:65]                      // 000000009988: D3B14004 18028104
	v_pk_mul_f32 v[6:7], v[6:7], v[66:67]                      // 000000009990: D3B14006 18028506
	v_pk_mul_f32 v[4:5], v[4:5], s[60:61]                      // 000000009998: D3B14004 18007904
	v_pk_mul_f32 v[6:7], v[6:7], s[60:61]                      // 0000000099A0: D3B14006 18007906
	v_exp_f32_e32 v4, v4                                       // 0000000099A8: 7E084104
	v_exp_f32_e32 v5, v5                                       // 0000000099AC: 7E0A4105
	v_exp_f32_e32 v6, v6                                       // 0000000099B0: 7E0C4106
	v_exp_f32_e32 v7, v7                                       // 0000000099B4: 7E0E4107
	v_add_f32_e64 v4, v4, 1.0                                  // 0000000099B8: D1010004 0001E504
	v_add_f32_e64 v5, v5, 1.0                                  // 0000000099C0: D1010005 0001E505
	v_add_f32_e64 v6, v6, 1.0                                  // 0000000099C8: D1010006 0001E506
	v_add_f32_e64 v7, v7, 1.0                                  // 0000000099D0: D1010007 0001E507
	v_rcp_f32_e32 v4, v4                                       // 0000000099D8: 7E084504
	v_rcp_f32_e32 v5, v5                                       // 0000000099DC: 7E0A4505
	v_rcp_f32_e32 v6, v6                                       // 0000000099E0: 7E0C4506
	v_rcp_f32_e32 v7, v7                                       // 0000000099E4: 7E0E4507
	v_mul_f32_e32 v64, v64, v4                                 // 0000000099E8: 0A800940
	v_mul_f32_e32 v65, v65, v5                                 // 0000000099EC: 0A820B41
	v_mul_f32_e32 v66, v66, v6                                 // 0000000099F0: 0A840D42
	v_mul_f32_e32 v67, v67, v7                                 // 0000000099F4: 0A860F43
	v_mul_f32_e32 v64, v64, v104                               // 0000000099F8: 0A80D140
	v_mul_f32_e32 v65, v65, v105                               // 0000000099FC: 0A82D341
	v_mul_f32_e32 v66, v66, v106                               // 000000009A00: 0A84D542
	v_mul_f32_e32 v67, v67, v107                               // 000000009A04: 0A86D743
	v_pk_mul_f32 v[4:5], v[68:69], v[68:69]                    // 000000009A08: D3B14004 18028944
	v_pk_mul_f32 v[6:7], v[70:71], v[70:71]                    // 000000009A10: D3B14006 18028D46
	v_pk_fma_f32 v[4:5], v[4:5], s[78:79], v[8:9]              // 000000009A18: D3B04004 1C209D04
	v_pk_fma_f32 v[6:7], v[6:7], s[78:79], v[8:9]              // 000000009A20: D3B04006 1C209D06
	v_pk_mul_f32 v[4:5], v[4:5], v[68:69]                      // 000000009A28: D3B14004 18028904
	v_pk_mul_f32 v[6:7], v[6:7], v[70:71]                      // 000000009A30: D3B14006 18028D06
	v_pk_mul_f32 v[4:5], v[4:5], s[60:61]                      // 000000009A38: D3B14004 18007904
	v_pk_mul_f32 v[6:7], v[6:7], s[60:61]                      // 000000009A40: D3B14006 18007906
	v_exp_f32_e32 v4, v4                                       // 000000009A48: 7E084104
	v_exp_f32_e32 v5, v5                                       // 000000009A4C: 7E0A4105
	v_exp_f32_e32 v6, v6                                       // 000000009A50: 7E0C4106
	v_exp_f32_e32 v7, v7                                       // 000000009A54: 7E0E4107
	v_add_f32_e64 v4, v4, 1.0                                  // 000000009A58: D1010004 0001E504
	v_add_f32_e64 v5, v5, 1.0                                  // 000000009A60: D1010005 0001E505
	v_add_f32_e64 v6, v6, 1.0                                  // 000000009A68: D1010006 0001E506
	v_add_f32_e64 v7, v7, 1.0                                  // 000000009A70: D1010007 0001E507
	v_rcp_f32_e32 v4, v4                                       // 000000009A78: 7E084504
	v_rcp_f32_e32 v5, v5                                       // 000000009A7C: 7E0A4505
	v_rcp_f32_e32 v6, v6                                       // 000000009A80: 7E0C4506
	v_rcp_f32_e32 v7, v7                                       // 000000009A84: 7E0E4507
	v_mul_f32_e32 v68, v68, v4                                 // 000000009A88: 0A880944
	v_mul_f32_e32 v69, v69, v5                                 // 000000009A8C: 0A8A0B45
	v_mul_f32_e32 v70, v70, v6                                 // 000000009A90: 0A8C0D46
	v_mul_f32_e32 v71, v71, v7                                 // 000000009A94: 0A8E0F47
	v_mul_f32_e32 v68, v68, v108                               // 000000009A98: 0A88D944
	v_mul_f32_e32 v69, v69, v109                               // 000000009A9C: 0A8ADB45
	v_mul_f32_e32 v70, v70, v110                               // 000000009AA0: 0A8CDD46
	v_mul_f32_e32 v71, v71, v111                               // 000000009AA4: 0A8EDF47
	v_pk_mul_f32 v[4:5], v[72:73], v[72:73]                    // 000000009AA8: D3B14004 18029148
	v_pk_mul_f32 v[6:7], v[74:75], v[74:75]                    // 000000009AB0: D3B14006 1802954A
	v_pk_fma_f32 v[4:5], v[4:5], s[78:79], v[8:9]              // 000000009AB8: D3B04004 1C209D04
	v_pk_fma_f32 v[6:7], v[6:7], s[78:79], v[8:9]              // 000000009AC0: D3B04006 1C209D06
	v_pk_mul_f32 v[4:5], v[4:5], v[72:73]                      // 000000009AC8: D3B14004 18029104
	v_pk_mul_f32 v[6:7], v[6:7], v[74:75]                      // 000000009AD0: D3B14006 18029506
	v_pk_mul_f32 v[4:5], v[4:5], s[60:61]                      // 000000009AD8: D3B14004 18007904
	v_pk_mul_f32 v[6:7], v[6:7], s[60:61]                      // 000000009AE0: D3B14006 18007906
	v_exp_f32_e32 v4, v4                                       // 000000009AE8: 7E084104
	v_exp_f32_e32 v5, v5                                       // 000000009AEC: 7E0A4105
	v_exp_f32_e32 v6, v6                                       // 000000009AF0: 7E0C4106
	v_exp_f32_e32 v7, v7                                       // 000000009AF4: 7E0E4107
	v_add_f32_e64 v4, v4, 1.0                                  // 000000009AF8: D1010004 0001E504
	v_add_f32_e64 v5, v5, 1.0                                  // 000000009B00: D1010005 0001E505
	v_add_f32_e64 v6, v6, 1.0                                  // 000000009B08: D1010006 0001E506
	v_add_f32_e64 v7, v7, 1.0                                  // 000000009B10: D1010007 0001E507
	v_rcp_f32_e32 v4, v4                                       // 000000009B18: 7E084504
	v_rcp_f32_e32 v5, v5                                       // 000000009B1C: 7E0A4505
	v_rcp_f32_e32 v6, v6                                       // 000000009B20: 7E0C4506
	v_rcp_f32_e32 v7, v7                                       // 000000009B24: 7E0E4507
	v_mul_f32_e32 v72, v72, v4                                 // 000000009B28: 0A900948
	v_mul_f32_e32 v73, v73, v5                                 // 000000009B2C: 0A920B49
	v_mul_f32_e32 v74, v74, v6                                 // 000000009B30: 0A940D4A
	v_mul_f32_e32 v75, v75, v7                                 // 000000009B34: 0A960F4B
	v_mul_f32_e32 v72, v72, v112                               // 000000009B38: 0A90E148
	v_mul_f32_e32 v73, v73, v113                               // 000000009B3C: 0A92E349
	v_mul_f32_e32 v74, v74, v114                               // 000000009B40: 0A94E54A
	v_mul_f32_e32 v75, v75, v115                               // 000000009B44: 0A96E74B
	v_pk_mul_f32 v[4:5], v[76:77], v[76:77]                    // 000000009B48: D3B14004 1802994C
	v_pk_mul_f32 v[6:7], v[78:79], v[78:79]                    // 000000009B50: D3B14006 18029D4E
	v_pk_fma_f32 v[4:5], v[4:5], s[78:79], v[8:9]              // 000000009B58: D3B04004 1C209D04
	v_pk_fma_f32 v[6:7], v[6:7], s[78:79], v[8:9]              // 000000009B60: D3B04006 1C209D06
	v_pk_mul_f32 v[4:5], v[4:5], v[76:77]                      // 000000009B68: D3B14004 18029904
	v_pk_mul_f32 v[6:7], v[6:7], v[78:79]                      // 000000009B70: D3B14006 18029D06
	v_pk_mul_f32 v[4:5], v[4:5], s[60:61]                      // 000000009B78: D3B14004 18007904
	v_pk_mul_f32 v[6:7], v[6:7], s[60:61]                      // 000000009B80: D3B14006 18007906
	v_exp_f32_e32 v4, v4                                       // 000000009B88: 7E084104
	v_exp_f32_e32 v5, v5                                       // 000000009B8C: 7E0A4105
	v_exp_f32_e32 v6, v6                                       // 000000009B90: 7E0C4106
	v_exp_f32_e32 v7, v7                                       // 000000009B94: 7E0E4107
	v_add_f32_e64 v4, v4, 1.0                                  // 000000009B98: D1010004 0001E504
	v_add_f32_e64 v5, v5, 1.0                                  // 000000009BA0: D1010005 0001E505
	v_add_f32_e64 v6, v6, 1.0                                  // 000000009BA8: D1010006 0001E506
	v_add_f32_e64 v7, v7, 1.0                                  // 000000009BB0: D1010007 0001E507
	v_rcp_f32_e32 v4, v4                                       // 000000009BB8: 7E084504
	v_rcp_f32_e32 v5, v5                                       // 000000009BBC: 7E0A4505
	v_rcp_f32_e32 v6, v6                                       // 000000009BC0: 7E0C4506
	v_rcp_f32_e32 v7, v7                                       // 000000009BC4: 7E0E4507
	v_mul_f32_e32 v76, v76, v4                                 // 000000009BC8: 0A98094C
	v_mul_f32_e32 v77, v77, v5                                 // 000000009BCC: 0A9A0B4D
	v_mul_f32_e32 v78, v78, v6                                 // 000000009BD0: 0A9C0D4E
	v_mul_f32_e32 v79, v79, v7                                 // 000000009BD4: 0A9E0F4F
	v_mul_f32_e32 v76, v76, v116                               // 000000009BD8: 0A98E94C
	v_mul_f32_e32 v77, v77, v117                               // 000000009BDC: 0A9AEB4D
	v_mul_f32_e32 v78, v78, v118                               // 000000009BE0: 0A9CED4E
	v_mul_f32_e32 v79, v79, v119                               // 000000009BE4: 0A9EEF4F
	v_pk_mul_f32 v[4:5], v[80:81], v[80:81]                    // 000000009BE8: D3B14004 1802A150
	v_pk_mul_f32 v[6:7], v[82:83], v[82:83]                    // 000000009BF0: D3B14006 1802A552
	v_pk_fma_f32 v[4:5], v[4:5], s[78:79], v[8:9]              // 000000009BF8: D3B04004 1C209D04
	v_pk_fma_f32 v[6:7], v[6:7], s[78:79], v[8:9]              // 000000009C00: D3B04006 1C209D06
	v_pk_mul_f32 v[4:5], v[4:5], v[80:81]                      // 000000009C08: D3B14004 1802A104
	v_pk_mul_f32 v[6:7], v[6:7], v[82:83]                      // 000000009C10: D3B14006 1802A506
	v_pk_mul_f32 v[4:5], v[4:5], s[60:61]                      // 000000009C18: D3B14004 18007904
	v_pk_mul_f32 v[6:7], v[6:7], s[60:61]                      // 000000009C20: D3B14006 18007906
	v_exp_f32_e32 v4, v4                                       // 000000009C28: 7E084104
	v_exp_f32_e32 v5, v5                                       // 000000009C2C: 7E0A4105
	v_exp_f32_e32 v6, v6                                       // 000000009C30: 7E0C4106
	v_exp_f32_e32 v7, v7                                       // 000000009C34: 7E0E4107
	v_add_f32_e64 v4, v4, 1.0                                  // 000000009C38: D1010004 0001E504
	v_add_f32_e64 v5, v5, 1.0                                  // 000000009C40: D1010005 0001E505
	v_add_f32_e64 v6, v6, 1.0                                  // 000000009C48: D1010006 0001E506
	v_add_f32_e64 v7, v7, 1.0                                  // 000000009C50: D1010007 0001E507
	v_rcp_f32_e32 v4, v4                                       // 000000009C58: 7E084504
	v_rcp_f32_e32 v5, v5                                       // 000000009C5C: 7E0A4505
	v_rcp_f32_e32 v6, v6                                       // 000000009C60: 7E0C4506
	v_rcp_f32_e32 v7, v7                                       // 000000009C64: 7E0E4507
	v_mul_f32_e32 v80, v80, v4                                 // 000000009C68: 0AA00950
	v_mul_f32_e32 v81, v81, v5                                 // 000000009C6C: 0AA20B51
	v_mul_f32_e32 v82, v82, v6                                 // 000000009C70: 0AA40D52
	v_mul_f32_e32 v83, v83, v7                                 // 000000009C74: 0AA60F53
	v_mul_f32_e32 v80, v80, v120                               // 000000009C78: 0AA0F150
	v_mul_f32_e32 v81, v81, v121                               // 000000009C7C: 0AA2F351
	v_mul_f32_e32 v82, v82, v122                               // 000000009C80: 0AA4F552
	v_mul_f32_e32 v83, v83, v123                               // 000000009C84: 0AA6F753
	v_pk_mul_f32 v[4:5], v[84:85], v[84:85]                    // 000000009C88: D3B14004 1802A954
	v_pk_mul_f32 v[6:7], v[86:87], v[86:87]                    // 000000009C90: D3B14006 1802AD56
	v_pk_fma_f32 v[4:5], v[4:5], s[78:79], v[8:9]              // 000000009C98: D3B04004 1C209D04
	v_pk_fma_f32 v[6:7], v[6:7], s[78:79], v[8:9]              // 000000009CA0: D3B04006 1C209D06
	v_pk_mul_f32 v[4:5], v[4:5], v[84:85]                      // 000000009CA8: D3B14004 1802A904
	v_pk_mul_f32 v[6:7], v[6:7], v[86:87]                      // 000000009CB0: D3B14006 1802AD06
	v_pk_mul_f32 v[4:5], v[4:5], s[60:61]                      // 000000009CB8: D3B14004 18007904
	v_pk_mul_f32 v[6:7], v[6:7], s[60:61]                      // 000000009CC0: D3B14006 18007906
	v_exp_f32_e32 v4, v4                                       // 000000009CC8: 7E084104
	v_exp_f32_e32 v5, v5                                       // 000000009CCC: 7E0A4105
	v_exp_f32_e32 v6, v6                                       // 000000009CD0: 7E0C4106
	v_exp_f32_e32 v7, v7                                       // 000000009CD4: 7E0E4107
	v_add_f32_e64 v4, v4, 1.0                                  // 000000009CD8: D1010004 0001E504
	v_add_f32_e64 v5, v5, 1.0                                  // 000000009CE0: D1010005 0001E505
	v_add_f32_e64 v6, v6, 1.0                                  // 000000009CE8: D1010006 0001E506
	v_add_f32_e64 v7, v7, 1.0                                  // 000000009CF0: D1010007 0001E507
	v_rcp_f32_e32 v4, v4                                       // 000000009CF8: 7E084504
	v_rcp_f32_e32 v5, v5                                       // 000000009CFC: 7E0A4505
	v_rcp_f32_e32 v6, v6                                       // 000000009D00: 7E0C4506
	v_rcp_f32_e32 v7, v7                                       // 000000009D04: 7E0E4507
	v_mul_f32_e32 v84, v84, v4                                 // 000000009D08: 0AA80954
	v_mul_f32_e32 v85, v85, v5                                 // 000000009D0C: 0AAA0B55
	v_mul_f32_e32 v86, v86, v6                                 // 000000009D10: 0AAC0D56
	v_mul_f32_e32 v87, v87, v7                                 // 000000009D14: 0AAE0F57
	v_mul_f32_e32 v84, v84, v124                               // 000000009D18: 0AA8F954
	v_mul_f32_e32 v85, v85, v125                               // 000000009D1C: 0AAAFB55
	v_mul_f32_e32 v86, v86, v126                               // 000000009D20: 0AACFD56
	v_mul_f32_e32 v87, v87, v127                               // 000000009D24: 0AAEFF57
	v_pk_mul_f32 v[4:5], v[88:89], v[88:89]                    // 000000009D28: D3B14004 1802B158
	v_pk_mul_f32 v[6:7], v[90:91], v[90:91]                    // 000000009D30: D3B14006 1802B55A
	v_pk_fma_f32 v[4:5], v[4:5], s[78:79], v[8:9]              // 000000009D38: D3B04004 1C209D04
	v_pk_fma_f32 v[6:7], v[6:7], s[78:79], v[8:9]              // 000000009D40: D3B04006 1C209D06
	v_pk_mul_f32 v[4:5], v[4:5], v[88:89]                      // 000000009D48: D3B14004 1802B104
	v_pk_mul_f32 v[6:7], v[6:7], v[90:91]                      // 000000009D50: D3B14006 1802B506
	v_pk_mul_f32 v[4:5], v[4:5], s[60:61]                      // 000000009D58: D3B14004 18007904
	v_pk_mul_f32 v[6:7], v[6:7], s[60:61]                      // 000000009D60: D3B14006 18007906
	v_exp_f32_e32 v4, v4                                       // 000000009D68: 7E084104
	v_exp_f32_e32 v5, v5                                       // 000000009D6C: 7E0A4105
	v_exp_f32_e32 v6, v6                                       // 000000009D70: 7E0C4106
	v_exp_f32_e32 v7, v7                                       // 000000009D74: 7E0E4107
	v_add_f32_e64 v4, v4, 1.0                                  // 000000009D78: D1010004 0001E504
	v_add_f32_e64 v5, v5, 1.0                                  // 000000009D80: D1010005 0001E505
	v_add_f32_e64 v6, v6, 1.0                                  // 000000009D88: D1010006 0001E506
	v_add_f32_e64 v7, v7, 1.0                                  // 000000009D90: D1010007 0001E507
	v_rcp_f32_e32 v4, v4                                       // 000000009D98: 7E084504
	v_rcp_f32_e32 v5, v5                                       // 000000009D9C: 7E0A4505
	v_rcp_f32_e32 v6, v6                                       // 000000009DA0: 7E0C4506
	v_rcp_f32_e32 v7, v7                                       // 000000009DA4: 7E0E4507
	v_mul_f32_e32 v88, v88, v4                                 // 000000009DA8: 0AB00958
	v_mul_f32_e32 v89, v89, v5                                 // 000000009DAC: 0AB20B59
	v_mul_f32_e32 v90, v90, v6                                 // 000000009DB0: 0AB40D5A
	v_mul_f32_e32 v91, v91, v7                                 // 000000009DB4: 0AB60F5B
	v_mul_f32_e32 v88, v88, v128                               // 000000009DB8: 0AB10158
	v_mul_f32_e32 v89, v89, v129                               // 000000009DBC: 0AB30359
	v_mul_f32_e32 v90, v90, v130                               // 000000009DC0: 0AB5055A
	v_mul_f32_e32 v91, v91, v131                               // 000000009DC4: 0AB7075B
	v_pk_mul_f32 v[4:5], v[92:93], v[92:93]                    // 000000009DC8: D3B14004 1802B95C
	v_pk_mul_f32 v[6:7], v[94:95], v[94:95]                    // 000000009DD0: D3B14006 1802BD5E
	v_pk_fma_f32 v[4:5], v[4:5], s[78:79], v[8:9]              // 000000009DD8: D3B04004 1C209D04
	v_pk_fma_f32 v[6:7], v[6:7], s[78:79], v[8:9]              // 000000009DE0: D3B04006 1C209D06
	v_pk_mul_f32 v[4:5], v[4:5], v[92:93]                      // 000000009DE8: D3B14004 1802B904
	v_pk_mul_f32 v[6:7], v[6:7], v[94:95]                      // 000000009DF0: D3B14006 1802BD06
	v_pk_mul_f32 v[4:5], v[4:5], s[60:61]                      // 000000009DF8: D3B14004 18007904
	v_pk_mul_f32 v[6:7], v[6:7], s[60:61]                      // 000000009E00: D3B14006 18007906
	v_exp_f32_e32 v4, v4                                       // 000000009E08: 7E084104
	v_exp_f32_e32 v5, v5                                       // 000000009E0C: 7E0A4105
	v_exp_f32_e32 v6, v6                                       // 000000009E10: 7E0C4106
	v_exp_f32_e32 v7, v7                                       // 000000009E14: 7E0E4107
	v_add_f32_e64 v4, v4, 1.0                                  // 000000009E18: D1010004 0001E504
	v_add_f32_e64 v5, v5, 1.0                                  // 000000009E20: D1010005 0001E505
	v_add_f32_e64 v6, v6, 1.0                                  // 000000009E28: D1010006 0001E506
	v_add_f32_e64 v7, v7, 1.0                                  // 000000009E30: D1010007 0001E507
	v_rcp_f32_e32 v4, v4                                       // 000000009E38: 7E084504
	v_rcp_f32_e32 v5, v5                                       // 000000009E3C: 7E0A4505
	v_rcp_f32_e32 v6, v6                                       // 000000009E40: 7E0C4506
	v_rcp_f32_e32 v7, v7                                       // 000000009E44: 7E0E4507
	v_mul_f32_e32 v92, v92, v4                                 // 000000009E48: 0AB8095C
	v_mul_f32_e32 v93, v93, v5                                 // 000000009E4C: 0ABA0B5D
	v_mul_f32_e32 v94, v94, v6                                 // 000000009E50: 0ABC0D5E
	v_mul_f32_e32 v95, v95, v7                                 // 000000009E54: 0ABE0F5F
	v_mul_f32_e32 v92, v92, v132                               // 000000009E58: 0AB9095C
	v_mul_f32_e32 v93, v93, v133                               // 000000009E5C: 0ABB0B5D
	v_mul_f32_e32 v94, v94, v134                               // 000000009E60: 0ABD0D5E
	v_mul_f32_e32 v95, v95, v135                               // 000000009E64: 0ABF0F5F
	v_pk_mul_f32 v[4:5], v[96:97], v[96:97]                    // 000000009E68: D3B14004 1802C160
	v_pk_mul_f32 v[6:7], v[98:99], v[98:99]                    // 000000009E70: D3B14006 1802C562
	v_pk_fma_f32 v[4:5], v[4:5], s[78:79], v[8:9]              // 000000009E78: D3B04004 1C209D04
	v_pk_fma_f32 v[6:7], v[6:7], s[78:79], v[8:9]              // 000000009E80: D3B04006 1C209D06
	v_pk_mul_f32 v[4:5], v[4:5], v[96:97]                      // 000000009E88: D3B14004 1802C104
	v_pk_mul_f32 v[6:7], v[6:7], v[98:99]                      // 000000009E90: D3B14006 1802C506
	v_pk_mul_f32 v[4:5], v[4:5], s[60:61]                      // 000000009E98: D3B14004 18007904
	v_pk_mul_f32 v[6:7], v[6:7], s[60:61]                      // 000000009EA0: D3B14006 18007906
	v_exp_f32_e32 v4, v4                                       // 000000009EA8: 7E084104
	v_exp_f32_e32 v5, v5                                       // 000000009EAC: 7E0A4105
	v_exp_f32_e32 v6, v6                                       // 000000009EB0: 7E0C4106
	v_exp_f32_e32 v7, v7                                       // 000000009EB4: 7E0E4107
	v_add_f32_e64 v4, v4, 1.0                                  // 000000009EB8: D1010004 0001E504
	v_add_f32_e64 v5, v5, 1.0                                  // 000000009EC0: D1010005 0001E505
	v_add_f32_e64 v6, v6, 1.0                                  // 000000009EC8: D1010006 0001E506
	v_add_f32_e64 v7, v7, 1.0                                  // 000000009ED0: D1010007 0001E507
	v_rcp_f32_e32 v4, v4                                       // 000000009ED8: 7E084504
	v_rcp_f32_e32 v5, v5                                       // 000000009EDC: 7E0A4505
	v_rcp_f32_e32 v6, v6                                       // 000000009EE0: 7E0C4506
	v_rcp_f32_e32 v7, v7                                       // 000000009EE4: 7E0E4507
	v_mul_f32_e32 v96, v96, v4                                 // 000000009EE8: 0AC00960
	v_mul_f32_e32 v97, v97, v5                                 // 000000009EEC: 0AC20B61
	v_mul_f32_e32 v98, v98, v6                                 // 000000009EF0: 0AC40D62
	v_mul_f32_e32 v99, v99, v7                                 // 000000009EF4: 0AC60F63
	v_mul_f32_e32 v96, v96, v136                               // 000000009EF8: 0AC11160
	v_mul_f32_e32 v97, v97, v137                               // 000000009EFC: 0AC31361
	v_mul_f32_e32 v98, v98, v138                               // 000000009F00: 0AC51562
	v_mul_f32_e32 v99, v99, v139                               // 000000009F04: 0AC71763
	v_pk_mul_f32 v[4:5], v[100:101], v[100:101]                // 000000009F08: D3B14004 1802C964
	v_pk_mul_f32 v[6:7], v[102:103], v[102:103]                // 000000009F10: D3B14006 1802CD66
	v_pk_fma_f32 v[4:5], v[4:5], s[78:79], v[8:9]              // 000000009F18: D3B04004 1C209D04
	v_pk_fma_f32 v[6:7], v[6:7], s[78:79], v[8:9]              // 000000009F20: D3B04006 1C209D06
	v_pk_mul_f32 v[4:5], v[4:5], v[100:101]                    // 000000009F28: D3B14004 1802C904
	v_pk_mul_f32 v[6:7], v[6:7], v[102:103]                    // 000000009F30: D3B14006 1802CD06
	v_pk_mul_f32 v[4:5], v[4:5], s[60:61]                      // 000000009F38: D3B14004 18007904
	v_pk_mul_f32 v[6:7], v[6:7], s[60:61]                      // 000000009F40: D3B14006 18007906
	v_exp_f32_e32 v4, v4                                       // 000000009F48: 7E084104
	v_exp_f32_e32 v5, v5                                       // 000000009F4C: 7E0A4105
	v_exp_f32_e32 v6, v6                                       // 000000009F50: 7E0C4106
	v_exp_f32_e32 v7, v7                                       // 000000009F54: 7E0E4107
	v_add_f32_e64 v4, v4, 1.0                                  // 000000009F58: D1010004 0001E504
	v_add_f32_e64 v5, v5, 1.0                                  // 000000009F60: D1010005 0001E505
	v_add_f32_e64 v6, v6, 1.0                                  // 000000009F68: D1010006 0001E506
	v_add_f32_e64 v7, v7, 1.0                                  // 000000009F70: D1010007 0001E507
	v_rcp_f32_e32 v4, v4                                       // 000000009F78: 7E084504
	v_rcp_f32_e32 v5, v5                                       // 000000009F7C: 7E0A4505
	v_rcp_f32_e32 v6, v6                                       // 000000009F80: 7E0C4506
	v_rcp_f32_e32 v7, v7                                       // 000000009F84: 7E0E4507
	v_mul_f32_e32 v100, v100, v4                               // 000000009F88: 0AC80964
	v_mul_f32_e32 v101, v101, v5                               // 000000009F8C: 0ACA0B65
	v_mul_f32_e32 v102, v102, v6                               // 000000009F90: 0ACC0D66
	v_mul_f32_e32 v103, v103, v7                               // 000000009F94: 0ACE0F67
	v_mul_f32_e32 v100, v100, v140                             // 000000009F98: 0AC91964
	v_mul_f32_e32 v101, v101, v141                             // 000000009F9C: 0ACB1B65
	v_mul_f32_e32 v102, v102, v142                             // 000000009FA0: 0ACD1D66
	v_mul_f32_e32 v103, v103, v143                             // 000000009FA4: 0ACF1F67
	s_branch label_1EAE                                        // 000000009FA8: BF820140

0000000000009fac <label_1D6E>:
	v_mul_f32_e64 v4, -v64, s6                                 // 000000009FAC: D1050004 20000D40
	v_mul_f32_e64 v5, -v65, s6                                 // 000000009FB4: D1050005 20000D41
	v_mul_f32_e64 v6, -v66, s6                                 // 000000009FBC: D1050006 20000D42
	v_mul_f32_e64 v7, -v67, s6                                 // 000000009FC4: D1050007 20000D43
	v_exp_f32_e32 v4, v4                                       // 000000009FCC: 7E084104
	v_exp_f32_e32 v5, v5                                       // 000000009FD0: 7E0A4105
	v_exp_f32_e32 v6, v6                                       // 000000009FD4: 7E0C4106
	v_exp_f32_e32 v7, v7                                       // 000000009FD8: 7E0E4107
	v_add_f32_e64 v4, v4, 1.0                                  // 000000009FDC: D1010004 0001E504
	v_add_f32_e64 v5, v5, 1.0                                  // 000000009FE4: D1010005 0001E505
	v_add_f32_e64 v6, v6, 1.0                                  // 000000009FEC: D1010006 0001E506
	v_add_f32_e64 v7, v7, 1.0                                  // 000000009FF4: D1010007 0001E507
	v_rcp_f32_e32 v4, v4                                       // 000000009FFC: 7E084504
	v_rcp_f32_e32 v5, v5                                       // 00000000A000: 7E0A4505
	v_rcp_f32_e32 v6, v6                                       // 00000000A004: 7E0C4506
	v_rcp_f32_e32 v7, v7                                       // 00000000A008: 7E0E4507
	v_mul_f32_e32 v64, v64, v4                                 // 00000000A00C: 0A800940
	v_mul_f32_e32 v65, v65, v5                                 // 00000000A010: 0A820B41
	v_mul_f32_e32 v66, v66, v6                                 // 00000000A014: 0A840D42
	v_mul_f32_e32 v67, v67, v7                                 // 00000000A018: 0A860F43
	v_mul_f32_e32 v64, v64, v104                               // 00000000A01C: 0A80D140
	v_mul_f32_e32 v65, v65, v105                               // 00000000A020: 0A82D341
	v_mul_f32_e32 v66, v66, v106                               // 00000000A024: 0A84D542
	v_mul_f32_e32 v67, v67, v107                               // 00000000A028: 0A86D743
	v_mul_f32_e64 v4, -v68, s6                                 // 00000000A02C: D1050004 20000D44
	v_mul_f32_e64 v5, -v69, s6                                 // 00000000A034: D1050005 20000D45
	v_mul_f32_e64 v6, -v70, s6                                 // 00000000A03C: D1050006 20000D46
	v_mul_f32_e64 v7, -v71, s6                                 // 00000000A044: D1050007 20000D47
	v_exp_f32_e32 v4, v4                                       // 00000000A04C: 7E084104
	v_exp_f32_e32 v5, v5                                       // 00000000A050: 7E0A4105
	v_exp_f32_e32 v6, v6                                       // 00000000A054: 7E0C4106
	v_exp_f32_e32 v7, v7                                       // 00000000A058: 7E0E4107
	v_add_f32_e64 v4, v4, 1.0                                  // 00000000A05C: D1010004 0001E504
	v_add_f32_e64 v5, v5, 1.0                                  // 00000000A064: D1010005 0001E505
	v_add_f32_e64 v6, v6, 1.0                                  // 00000000A06C: D1010006 0001E506
	v_add_f32_e64 v7, v7, 1.0                                  // 00000000A074: D1010007 0001E507
	v_rcp_f32_e32 v4, v4                                       // 00000000A07C: 7E084504
	v_rcp_f32_e32 v5, v5                                       // 00000000A080: 7E0A4505
	v_rcp_f32_e32 v6, v6                                       // 00000000A084: 7E0C4506
	v_rcp_f32_e32 v7, v7                                       // 00000000A088: 7E0E4507
	v_mul_f32_e32 v68, v68, v4                                 // 00000000A08C: 0A880944
	v_mul_f32_e32 v69, v69, v5                                 // 00000000A090: 0A8A0B45
	v_mul_f32_e32 v70, v70, v6                                 // 00000000A094: 0A8C0D46
	v_mul_f32_e32 v71, v71, v7                                 // 00000000A098: 0A8E0F47
	v_mul_f32_e32 v68, v68, v108                               // 00000000A09C: 0A88D944
	v_mul_f32_e32 v69, v69, v109                               // 00000000A0A0: 0A8ADB45
	v_mul_f32_e32 v70, v70, v110                               // 00000000A0A4: 0A8CDD46
	v_mul_f32_e32 v71, v71, v111                               // 00000000A0A8: 0A8EDF47
	v_mul_f32_e64 v4, -v72, s6                                 // 00000000A0AC: D1050004 20000D48
	v_mul_f32_e64 v5, -v73, s6                                 // 00000000A0B4: D1050005 20000D49
	v_mul_f32_e64 v6, -v74, s6                                 // 00000000A0BC: D1050006 20000D4A
	v_mul_f32_e64 v7, -v75, s6                                 // 00000000A0C4: D1050007 20000D4B
	v_exp_f32_e32 v4, v4                                       // 00000000A0CC: 7E084104
	v_exp_f32_e32 v5, v5                                       // 00000000A0D0: 7E0A4105
	v_exp_f32_e32 v6, v6                                       // 00000000A0D4: 7E0C4106
	v_exp_f32_e32 v7, v7                                       // 00000000A0D8: 7E0E4107
	v_add_f32_e64 v4, v4, 1.0                                  // 00000000A0DC: D1010004 0001E504
	v_add_f32_e64 v5, v5, 1.0                                  // 00000000A0E4: D1010005 0001E505
	v_add_f32_e64 v6, v6, 1.0                                  // 00000000A0EC: D1010006 0001E506
	v_add_f32_e64 v7, v7, 1.0                                  // 00000000A0F4: D1010007 0001E507
	v_rcp_f32_e32 v4, v4                                       // 00000000A0FC: 7E084504
	v_rcp_f32_e32 v5, v5                                       // 00000000A100: 7E0A4505
	v_rcp_f32_e32 v6, v6                                       // 00000000A104: 7E0C4506
	v_rcp_f32_e32 v7, v7                                       // 00000000A108: 7E0E4507
	v_mul_f32_e32 v72, v72, v4                                 // 00000000A10C: 0A900948
	v_mul_f32_e32 v73, v73, v5                                 // 00000000A110: 0A920B49
	v_mul_f32_e32 v74, v74, v6                                 // 00000000A114: 0A940D4A
	v_mul_f32_e32 v75, v75, v7                                 // 00000000A118: 0A960F4B
	v_mul_f32_e32 v72, v72, v112                               // 00000000A11C: 0A90E148
	v_mul_f32_e32 v73, v73, v113                               // 00000000A120: 0A92E349
	v_mul_f32_e32 v74, v74, v114                               // 00000000A124: 0A94E54A
	v_mul_f32_e32 v75, v75, v115                               // 00000000A128: 0A96E74B
	v_mul_f32_e64 v4, -v76, s6                                 // 00000000A12C: D1050004 20000D4C
	v_mul_f32_e64 v5, -v77, s6                                 // 00000000A134: D1050005 20000D4D
	v_mul_f32_e64 v6, -v78, s6                                 // 00000000A13C: D1050006 20000D4E
	v_mul_f32_e64 v7, -v79, s6                                 // 00000000A144: D1050007 20000D4F
	v_exp_f32_e32 v4, v4                                       // 00000000A14C: 7E084104
	v_exp_f32_e32 v5, v5                                       // 00000000A150: 7E0A4105
	v_exp_f32_e32 v6, v6                                       // 00000000A154: 7E0C4106
	v_exp_f32_e32 v7, v7                                       // 00000000A158: 7E0E4107
	v_add_f32_e64 v4, v4, 1.0                                  // 00000000A15C: D1010004 0001E504
	v_add_f32_e64 v5, v5, 1.0                                  // 00000000A164: D1010005 0001E505
	v_add_f32_e64 v6, v6, 1.0                                  // 00000000A16C: D1010006 0001E506
	v_add_f32_e64 v7, v7, 1.0                                  // 00000000A174: D1010007 0001E507
	v_rcp_f32_e32 v4, v4                                       // 00000000A17C: 7E084504
	v_rcp_f32_e32 v5, v5                                       // 00000000A180: 7E0A4505
	v_rcp_f32_e32 v6, v6                                       // 00000000A184: 7E0C4506
	v_rcp_f32_e32 v7, v7                                       // 00000000A188: 7E0E4507
	v_mul_f32_e32 v76, v76, v4                                 // 00000000A18C: 0A98094C
	v_mul_f32_e32 v77, v77, v5                                 // 00000000A190: 0A9A0B4D
	v_mul_f32_e32 v78, v78, v6                                 // 00000000A194: 0A9C0D4E
	v_mul_f32_e32 v79, v79, v7                                 // 00000000A198: 0A9E0F4F
	v_mul_f32_e32 v76, v76, v116                               // 00000000A19C: 0A98E94C
	v_mul_f32_e32 v77, v77, v117                               // 00000000A1A0: 0A9AEB4D
	v_mul_f32_e32 v78, v78, v118                               // 00000000A1A4: 0A9CED4E
	v_mul_f32_e32 v79, v79, v119                               // 00000000A1A8: 0A9EEF4F
	v_mul_f32_e64 v4, -v80, s6                                 // 00000000A1AC: D1050004 20000D50
	v_mul_f32_e64 v5, -v81, s6                                 // 00000000A1B4: D1050005 20000D51
	v_mul_f32_e64 v6, -v82, s6                                 // 00000000A1BC: D1050006 20000D52
	v_mul_f32_e64 v7, -v83, s6                                 // 00000000A1C4: D1050007 20000D53
	v_exp_f32_e32 v4, v4                                       // 00000000A1CC: 7E084104
	v_exp_f32_e32 v5, v5                                       // 00000000A1D0: 7E0A4105
	v_exp_f32_e32 v6, v6                                       // 00000000A1D4: 7E0C4106
	v_exp_f32_e32 v7, v7                                       // 00000000A1D8: 7E0E4107
	v_add_f32_e64 v4, v4, 1.0                                  // 00000000A1DC: D1010004 0001E504
	v_add_f32_e64 v5, v5, 1.0                                  // 00000000A1E4: D1010005 0001E505
	v_add_f32_e64 v6, v6, 1.0                                  // 00000000A1EC: D1010006 0001E506
	v_add_f32_e64 v7, v7, 1.0                                  // 00000000A1F4: D1010007 0001E507
	v_rcp_f32_e32 v4, v4                                       // 00000000A1FC: 7E084504
	v_rcp_f32_e32 v5, v5                                       // 00000000A200: 7E0A4505
	v_rcp_f32_e32 v6, v6                                       // 00000000A204: 7E0C4506
	v_rcp_f32_e32 v7, v7                                       // 00000000A208: 7E0E4507
	v_mul_f32_e32 v80, v80, v4                                 // 00000000A20C: 0AA00950
	v_mul_f32_e32 v81, v81, v5                                 // 00000000A210: 0AA20B51
	v_mul_f32_e32 v82, v82, v6                                 // 00000000A214: 0AA40D52
	v_mul_f32_e32 v83, v83, v7                                 // 00000000A218: 0AA60F53
	v_mul_f32_e32 v80, v80, v120                               // 00000000A21C: 0AA0F150
	v_mul_f32_e32 v81, v81, v121                               // 00000000A220: 0AA2F351
	v_mul_f32_e32 v82, v82, v122                               // 00000000A224: 0AA4F552
	v_mul_f32_e32 v83, v83, v123                               // 00000000A228: 0AA6F753
	v_mul_f32_e64 v4, -v84, s6                                 // 00000000A22C: D1050004 20000D54
	v_mul_f32_e64 v5, -v85, s6                                 // 00000000A234: D1050005 20000D55
	v_mul_f32_e64 v6, -v86, s6                                 // 00000000A23C: D1050006 20000D56
	v_mul_f32_e64 v7, -v87, s6                                 // 00000000A244: D1050007 20000D57
	v_exp_f32_e32 v4, v4                                       // 00000000A24C: 7E084104
	v_exp_f32_e32 v5, v5                                       // 00000000A250: 7E0A4105
	v_exp_f32_e32 v6, v6                                       // 00000000A254: 7E0C4106
	v_exp_f32_e32 v7, v7                                       // 00000000A258: 7E0E4107
	v_add_f32_e64 v4, v4, 1.0                                  // 00000000A25C: D1010004 0001E504
	v_add_f32_e64 v5, v5, 1.0                                  // 00000000A264: D1010005 0001E505
	v_add_f32_e64 v6, v6, 1.0                                  // 00000000A26C: D1010006 0001E506
	v_add_f32_e64 v7, v7, 1.0                                  // 00000000A274: D1010007 0001E507
	v_rcp_f32_e32 v4, v4                                       // 00000000A27C: 7E084504
	v_rcp_f32_e32 v5, v5                                       // 00000000A280: 7E0A4505
	v_rcp_f32_e32 v6, v6                                       // 00000000A284: 7E0C4506
	v_rcp_f32_e32 v7, v7                                       // 00000000A288: 7E0E4507
	v_mul_f32_e32 v84, v84, v4                                 // 00000000A28C: 0AA80954
	v_mul_f32_e32 v85, v85, v5                                 // 00000000A290: 0AAA0B55
	v_mul_f32_e32 v86, v86, v6                                 // 00000000A294: 0AAC0D56
	v_mul_f32_e32 v87, v87, v7                                 // 00000000A298: 0AAE0F57
	v_mul_f32_e32 v84, v84, v124                               // 00000000A29C: 0AA8F954
	v_mul_f32_e32 v85, v85, v125                               // 00000000A2A0: 0AAAFB55
	v_mul_f32_e32 v86, v86, v126                               // 00000000A2A4: 0AACFD56
	v_mul_f32_e32 v87, v87, v127                               // 00000000A2A8: 0AAEFF57
	v_mul_f32_e64 v4, -v88, s6                                 // 00000000A2AC: D1050004 20000D58
	v_mul_f32_e64 v5, -v89, s6                                 // 00000000A2B4: D1050005 20000D59
	v_mul_f32_e64 v6, -v90, s6                                 // 00000000A2BC: D1050006 20000D5A
	v_mul_f32_e64 v7, -v91, s6                                 // 00000000A2C4: D1050007 20000D5B
	v_exp_f32_e32 v4, v4                                       // 00000000A2CC: 7E084104
	v_exp_f32_e32 v5, v5                                       // 00000000A2D0: 7E0A4105
	v_exp_f32_e32 v6, v6                                       // 00000000A2D4: 7E0C4106
	v_exp_f32_e32 v7, v7                                       // 00000000A2D8: 7E0E4107
	v_add_f32_e64 v4, v4, 1.0                                  // 00000000A2DC: D1010004 0001E504
	v_add_f32_e64 v5, v5, 1.0                                  // 00000000A2E4: D1010005 0001E505
	v_add_f32_e64 v6, v6, 1.0                                  // 00000000A2EC: D1010006 0001E506
	v_add_f32_e64 v7, v7, 1.0                                  // 00000000A2F4: D1010007 0001E507
	v_rcp_f32_e32 v4, v4                                       // 00000000A2FC: 7E084504
	v_rcp_f32_e32 v5, v5                                       // 00000000A300: 7E0A4505
	v_rcp_f32_e32 v6, v6                                       // 00000000A304: 7E0C4506
	v_rcp_f32_e32 v7, v7                                       // 00000000A308: 7E0E4507
	v_mul_f32_e32 v88, v88, v4                                 // 00000000A30C: 0AB00958
	v_mul_f32_e32 v89, v89, v5                                 // 00000000A310: 0AB20B59
	v_mul_f32_e32 v90, v90, v6                                 // 00000000A314: 0AB40D5A
	v_mul_f32_e32 v91, v91, v7                                 // 00000000A318: 0AB60F5B
	v_mul_f32_e32 v88, v88, v128                               // 00000000A31C: 0AB10158
	v_mul_f32_e32 v89, v89, v129                               // 00000000A320: 0AB30359
	v_mul_f32_e32 v90, v90, v130                               // 00000000A324: 0AB5055A
	v_mul_f32_e32 v91, v91, v131                               // 00000000A328: 0AB7075B
	v_mul_f32_e64 v4, -v92, s6                                 // 00000000A32C: D1050004 20000D5C
	v_mul_f32_e64 v5, -v93, s6                                 // 00000000A334: D1050005 20000D5D
	v_mul_f32_e64 v6, -v94, s6                                 // 00000000A33C: D1050006 20000D5E
	v_mul_f32_e64 v7, -v95, s6                                 // 00000000A344: D1050007 20000D5F
	v_exp_f32_e32 v4, v4                                       // 00000000A34C: 7E084104
	v_exp_f32_e32 v5, v5                                       // 00000000A350: 7E0A4105
	v_exp_f32_e32 v6, v6                                       // 00000000A354: 7E0C4106
	v_exp_f32_e32 v7, v7                                       // 00000000A358: 7E0E4107
	v_add_f32_e64 v4, v4, 1.0                                  // 00000000A35C: D1010004 0001E504
	v_add_f32_e64 v5, v5, 1.0                                  // 00000000A364: D1010005 0001E505
	v_add_f32_e64 v6, v6, 1.0                                  // 00000000A36C: D1010006 0001E506
	v_add_f32_e64 v7, v7, 1.0                                  // 00000000A374: D1010007 0001E507
	v_rcp_f32_e32 v4, v4                                       // 00000000A37C: 7E084504
	v_rcp_f32_e32 v5, v5                                       // 00000000A380: 7E0A4505
	v_rcp_f32_e32 v6, v6                                       // 00000000A384: 7E0C4506
	v_rcp_f32_e32 v7, v7                                       // 00000000A388: 7E0E4507
	v_mul_f32_e32 v92, v92, v4                                 // 00000000A38C: 0AB8095C
	v_mul_f32_e32 v93, v93, v5                                 // 00000000A390: 0ABA0B5D
	v_mul_f32_e32 v94, v94, v6                                 // 00000000A394: 0ABC0D5E
	v_mul_f32_e32 v95, v95, v7                                 // 00000000A398: 0ABE0F5F
	v_mul_f32_e32 v92, v92, v132                               // 00000000A39C: 0AB9095C
	v_mul_f32_e32 v93, v93, v133                               // 00000000A3A0: 0ABB0B5D
	v_mul_f32_e32 v94, v94, v134                               // 00000000A3A4: 0ABD0D5E
	v_mul_f32_e32 v95, v95, v135                               // 00000000A3A8: 0ABF0F5F
	v_mul_f32_e64 v4, -v96, s6                                 // 00000000A3AC: D1050004 20000D60
	v_mul_f32_e64 v5, -v97, s6                                 // 00000000A3B4: D1050005 20000D61
	v_mul_f32_e64 v6, -v98, s6                                 // 00000000A3BC: D1050006 20000D62
	v_mul_f32_e64 v7, -v99, s6                                 // 00000000A3C4: D1050007 20000D63
	v_exp_f32_e32 v4, v4                                       // 00000000A3CC: 7E084104
	v_exp_f32_e32 v5, v5                                       // 00000000A3D0: 7E0A4105
	v_exp_f32_e32 v6, v6                                       // 00000000A3D4: 7E0C4106
	v_exp_f32_e32 v7, v7                                       // 00000000A3D8: 7E0E4107
	v_add_f32_e64 v4, v4, 1.0                                  // 00000000A3DC: D1010004 0001E504
	v_add_f32_e64 v5, v5, 1.0                                  // 00000000A3E4: D1010005 0001E505
	v_add_f32_e64 v6, v6, 1.0                                  // 00000000A3EC: D1010006 0001E506
	v_add_f32_e64 v7, v7, 1.0                                  // 00000000A3F4: D1010007 0001E507
	v_rcp_f32_e32 v4, v4                                       // 00000000A3FC: 7E084504
	v_rcp_f32_e32 v5, v5                                       // 00000000A400: 7E0A4505
	v_rcp_f32_e32 v6, v6                                       // 00000000A404: 7E0C4506
	v_rcp_f32_e32 v7, v7                                       // 00000000A408: 7E0E4507
	v_mul_f32_e32 v96, v96, v4                                 // 00000000A40C: 0AC00960
	v_mul_f32_e32 v97, v97, v5                                 // 00000000A410: 0AC20B61
	v_mul_f32_e32 v98, v98, v6                                 // 00000000A414: 0AC40D62
	v_mul_f32_e32 v99, v99, v7                                 // 00000000A418: 0AC60F63
	v_mul_f32_e32 v96, v96, v136                               // 00000000A41C: 0AC11160
	v_mul_f32_e32 v97, v97, v137                               // 00000000A420: 0AC31361
	v_mul_f32_e32 v98, v98, v138                               // 00000000A424: 0AC51562
	v_mul_f32_e32 v99, v99, v139                               // 00000000A428: 0AC71763
	v_mul_f32_e64 v4, -v100, s6                                // 00000000A42C: D1050004 20000D64
	v_mul_f32_e64 v5, -v101, s6                                // 00000000A434: D1050005 20000D65
	v_mul_f32_e64 v6, -v102, s6                                // 00000000A43C: D1050006 20000D66
	v_mul_f32_e64 v7, -v103, s6                                // 00000000A444: D1050007 20000D67
	v_exp_f32_e32 v4, v4                                       // 00000000A44C: 7E084104
	v_exp_f32_e32 v5, v5                                       // 00000000A450: 7E0A4105
	v_exp_f32_e32 v6, v6                                       // 00000000A454: 7E0C4106
	v_exp_f32_e32 v7, v7                                       // 00000000A458: 7E0E4107
	v_add_f32_e64 v4, v4, 1.0                                  // 00000000A45C: D1010004 0001E504
	v_add_f32_e64 v5, v5, 1.0                                  // 00000000A464: D1010005 0001E505
	v_add_f32_e64 v6, v6, 1.0                                  // 00000000A46C: D1010006 0001E506
	v_add_f32_e64 v7, v7, 1.0                                  // 00000000A474: D1010007 0001E507
	v_rcp_f32_e32 v4, v4                                       // 00000000A47C: 7E084504
	v_rcp_f32_e32 v5, v5                                       // 00000000A480: 7E0A4505
	v_rcp_f32_e32 v6, v6                                       // 00000000A484: 7E0C4506
	v_rcp_f32_e32 v7, v7                                       // 00000000A488: 7E0E4507
	v_mul_f32_e32 v100, v100, v4                               // 00000000A48C: 0AC80964
	v_mul_f32_e32 v101, v101, v5                               // 00000000A490: 0ACA0B65
	v_mul_f32_e32 v102, v102, v6                               // 00000000A494: 0ACC0D66
	v_mul_f32_e32 v103, v103, v7                               // 00000000A498: 0ACE0F67
	v_mul_f32_e32 v100, v100, v140                             // 00000000A49C: 0AC91964
	v_mul_f32_e32 v101, v101, v141                             // 00000000A4A0: 0ACB1B65
	v_mul_f32_e32 v102, v102, v142                             // 00000000A4A4: 0ACD1D66
	v_mul_f32_e32 v103, v103, v143                             // 00000000A4A8: 0ACF1F67

000000000000a4ac <label_1EAE>:
	v_cmp_u_f32_e64 s[46:47], v64, v64                         // 00000000A4AC: D048002E 00028140
	v_add3_u32 v16, v64, v19, 1                                // 00000000A4B4: D1FF0010 02062740
	v_cndmask_b32_e64 v4, v16, v18, s[46:47]                   // 00000000A4BC: D1000004 00BA2510
	v_cmp_u_f32_e64 s[46:47], v65, v65                         // 00000000A4C4: D048002E 00028341
	v_add3_u32 v16, v65, v19, 1                                // 00000000A4CC: D1FF0010 02062741
	v_cndmask_b32_e64 v5, v16, v18, s[46:47]                   // 00000000A4D4: D1000005 00BA2510
	v_perm_b32 v64, v5, v4, s52                                // 00000000A4DC: D1ED0040 00D20905
	v_cmp_u_f32_e64 s[46:47], v66, v66                         // 00000000A4E4: D048002E 00028542
	v_add3_u32 v16, v66, v19, 1                                // 00000000A4EC: D1FF0010 02062742
	v_cndmask_b32_e64 v4, v16, v18, s[46:47]                   // 00000000A4F4: D1000004 00BA2510
	v_cmp_u_f32_e64 s[46:47], v67, v67                         // 00000000A4FC: D048002E 00028743
	v_add3_u32 v16, v67, v19, 1                                // 00000000A504: D1FF0010 02062743
	v_cndmask_b32_e64 v5, v16, v18, s[46:47]                   // 00000000A50C: D1000005 00BA2510
	v_perm_b32 v65, v5, v4, s52                                // 00000000A514: D1ED0041 00D20905
	v_cmp_u_f32_e64 s[46:47], v68, v68                         // 00000000A51C: D048002E 00028944
	v_add3_u32 v16, v68, v19, 1                                // 00000000A524: D1FF0010 02062744
	v_cndmask_b32_e64 v4, v16, v18, s[46:47]                   // 00000000A52C: D1000004 00BA2510
	v_cmp_u_f32_e64 s[46:47], v69, v69                         // 00000000A534: D048002E 00028B45
	v_add3_u32 v16, v69, v19, 1                                // 00000000A53C: D1FF0010 02062745
	v_cndmask_b32_e64 v5, v16, v18, s[46:47]                   // 00000000A544: D1000005 00BA2510
	v_perm_b32 v66, v5, v4, s52                                // 00000000A54C: D1ED0042 00D20905
	v_cmp_u_f32_e64 s[46:47], v70, v70                         // 00000000A554: D048002E 00028D46
	v_add3_u32 v16, v70, v19, 1                                // 00000000A55C: D1FF0010 02062746
	v_cndmask_b32_e64 v4, v16, v18, s[46:47]                   // 00000000A564: D1000004 00BA2510
	v_cmp_u_f32_e64 s[46:47], v71, v71                         // 00000000A56C: D048002E 00028F47
	v_add3_u32 v16, v71, v19, 1                                // 00000000A574: D1FF0010 02062747
	v_cndmask_b32_e64 v5, v16, v18, s[46:47]                   // 00000000A57C: D1000005 00BA2510
	v_perm_b32 v67, v5, v4, s52                                // 00000000A584: D1ED0043 00D20905
	v_cmp_u_f32_e64 s[46:47], v72, v72                         // 00000000A58C: D048002E 00029148
	v_add3_u32 v16, v72, v19, 1                                // 00000000A594: D1FF0010 02062748
	v_cndmask_b32_e64 v4, v16, v18, s[46:47]                   // 00000000A59C: D1000004 00BA2510
	v_cmp_u_f32_e64 s[46:47], v73, v73                         // 00000000A5A4: D048002E 00029349
	v_add3_u32 v16, v73, v19, 1                                // 00000000A5AC: D1FF0010 02062749
	v_cndmask_b32_e64 v5, v16, v18, s[46:47]                   // 00000000A5B4: D1000005 00BA2510
	v_perm_b32 v68, v5, v4, s52                                // 00000000A5BC: D1ED0044 00D20905
	v_cmp_u_f32_e64 s[46:47], v74, v74                         // 00000000A5C4: D048002E 0002954A
	v_add3_u32 v16, v74, v19, 1                                // 00000000A5CC: D1FF0010 0206274A
	v_cndmask_b32_e64 v4, v16, v18, s[46:47]                   // 00000000A5D4: D1000004 00BA2510
	v_cmp_u_f32_e64 s[46:47], v75, v75                         // 00000000A5DC: D048002E 0002974B
	v_add3_u32 v16, v75, v19, 1                                // 00000000A5E4: D1FF0010 0206274B
	v_cndmask_b32_e64 v5, v16, v18, s[46:47]                   // 00000000A5EC: D1000005 00BA2510
	v_perm_b32 v69, v5, v4, s52                                // 00000000A5F4: D1ED0045 00D20905
	v_cmp_u_f32_e64 s[46:47], v76, v76                         // 00000000A5FC: D048002E 0002994C
	v_add3_u32 v16, v76, v19, 1                                // 00000000A604: D1FF0010 0206274C
	v_cndmask_b32_e64 v4, v16, v18, s[46:47]                   // 00000000A60C: D1000004 00BA2510
	v_cmp_u_f32_e64 s[46:47], v77, v77                         // 00000000A614: D048002E 00029B4D
	v_add3_u32 v16, v77, v19, 1                                // 00000000A61C: D1FF0010 0206274D
	v_cndmask_b32_e64 v5, v16, v18, s[46:47]                   // 00000000A624: D1000005 00BA2510
	v_perm_b32 v70, v5, v4, s52                                // 00000000A62C: D1ED0046 00D20905
	v_cmp_u_f32_e64 s[46:47], v78, v78                         // 00000000A634: D048002E 00029D4E
	v_add3_u32 v16, v78, v19, 1                                // 00000000A63C: D1FF0010 0206274E
	v_cndmask_b32_e64 v4, v16, v18, s[46:47]                   // 00000000A644: D1000004 00BA2510
	v_cmp_u_f32_e64 s[46:47], v79, v79                         // 00000000A64C: D048002E 00029F4F
	v_add3_u32 v16, v79, v19, 1                                // 00000000A654: D1FF0010 0206274F
	v_cndmask_b32_e64 v5, v16, v18, s[46:47]                   // 00000000A65C: D1000005 00BA2510
	v_perm_b32 v71, v5, v4, s52                                // 00000000A664: D1ED0047 00D20905
	v_cmp_u_f32_e64 s[46:47], v80, v80                         // 00000000A66C: D048002E 0002A150
	v_add3_u32 v16, v80, v19, 1                                // 00000000A674: D1FF0010 02062750
	v_cndmask_b32_e64 v4, v16, v18, s[46:47]                   // 00000000A67C: D1000004 00BA2510
	v_cmp_u_f32_e64 s[46:47], v81, v81                         // 00000000A684: D048002E 0002A351
	v_add3_u32 v16, v81, v19, 1                                // 00000000A68C: D1FF0010 02062751
	v_cndmask_b32_e64 v5, v16, v18, s[46:47]                   // 00000000A694: D1000005 00BA2510
	v_perm_b32 v72, v5, v4, s52                                // 00000000A69C: D1ED0048 00D20905
	v_cmp_u_f32_e64 s[46:47], v82, v82                         // 00000000A6A4: D048002E 0002A552
	v_add3_u32 v16, v82, v19, 1                                // 00000000A6AC: D1FF0010 02062752
	v_cndmask_b32_e64 v4, v16, v18, s[46:47]                   // 00000000A6B4: D1000004 00BA2510
	v_cmp_u_f32_e64 s[46:47], v83, v83                         // 00000000A6BC: D048002E 0002A753
	v_add3_u32 v16, v83, v19, 1                                // 00000000A6C4: D1FF0010 02062753
	v_cndmask_b32_e64 v5, v16, v18, s[46:47]                   // 00000000A6CC: D1000005 00BA2510
	v_perm_b32 v73, v5, v4, s52                                // 00000000A6D4: D1ED0049 00D20905
	v_cmp_u_f32_e64 s[46:47], v84, v84                         // 00000000A6DC: D048002E 0002A954
	v_add3_u32 v16, v84, v19, 1                                // 00000000A6E4: D1FF0010 02062754
	v_cndmask_b32_e64 v4, v16, v18, s[46:47]                   // 00000000A6EC: D1000004 00BA2510
	v_cmp_u_f32_e64 s[46:47], v85, v85                         // 00000000A6F4: D048002E 0002AB55
	v_add3_u32 v16, v85, v19, 1                                // 00000000A6FC: D1FF0010 02062755
	v_cndmask_b32_e64 v5, v16, v18, s[46:47]                   // 00000000A704: D1000005 00BA2510
	v_perm_b32 v74, v5, v4, s52                                // 00000000A70C: D1ED004A 00D20905
	v_cmp_u_f32_e64 s[46:47], v86, v86                         // 00000000A714: D048002E 0002AD56
	v_add3_u32 v16, v86, v19, 1                                // 00000000A71C: D1FF0010 02062756
	v_cndmask_b32_e64 v4, v16, v18, s[46:47]                   // 00000000A724: D1000004 00BA2510
	v_cmp_u_f32_e64 s[46:47], v87, v87                         // 00000000A72C: D048002E 0002AF57
	v_add3_u32 v16, v87, v19, 1                                // 00000000A734: D1FF0010 02062757
	v_cndmask_b32_e64 v5, v16, v18, s[46:47]                   // 00000000A73C: D1000005 00BA2510
	v_perm_b32 v75, v5, v4, s52                                // 00000000A744: D1ED004B 00D20905
	v_cmp_u_f32_e64 s[46:47], v88, v88                         // 00000000A74C: D048002E 0002B158
	v_add3_u32 v16, v88, v19, 1                                // 00000000A754: D1FF0010 02062758
	v_cndmask_b32_e64 v4, v16, v18, s[46:47]                   // 00000000A75C: D1000004 00BA2510
	v_cmp_u_f32_e64 s[46:47], v89, v89                         // 00000000A764: D048002E 0002B359
	v_add3_u32 v16, v89, v19, 1                                // 00000000A76C: D1FF0010 02062759
	v_cndmask_b32_e64 v5, v16, v18, s[46:47]                   // 00000000A774: D1000005 00BA2510
	v_perm_b32 v76, v5, v4, s52                                // 00000000A77C: D1ED004C 00D20905
	v_cmp_u_f32_e64 s[46:47], v90, v90                         // 00000000A784: D048002E 0002B55A
	v_add3_u32 v16, v90, v19, 1                                // 00000000A78C: D1FF0010 0206275A
	v_cndmask_b32_e64 v4, v16, v18, s[46:47]                   // 00000000A794: D1000004 00BA2510
	v_cmp_u_f32_e64 s[46:47], v91, v91                         // 00000000A79C: D048002E 0002B75B
	v_add3_u32 v16, v91, v19, 1                                // 00000000A7A4: D1FF0010 0206275B
	v_cndmask_b32_e64 v5, v16, v18, s[46:47]                   // 00000000A7AC: D1000005 00BA2510
	v_perm_b32 v77, v5, v4, s52                                // 00000000A7B4: D1ED004D 00D20905
	v_cmp_u_f32_e64 s[46:47], v92, v92                         // 00000000A7BC: D048002E 0002B95C
	v_add3_u32 v16, v92, v19, 1                                // 00000000A7C4: D1FF0010 0206275C
	v_cndmask_b32_e64 v4, v16, v18, s[46:47]                   // 00000000A7CC: D1000004 00BA2510
	v_cmp_u_f32_e64 s[46:47], v93, v93                         // 00000000A7D4: D048002E 0002BB5D
	v_add3_u32 v16, v93, v19, 1                                // 00000000A7DC: D1FF0010 0206275D
	v_cndmask_b32_e64 v5, v16, v18, s[46:47]                   // 00000000A7E4: D1000005 00BA2510
	v_perm_b32 v78, v5, v4, s52                                // 00000000A7EC: D1ED004E 00D20905
	v_cmp_u_f32_e64 s[46:47], v94, v94                         // 00000000A7F4: D048002E 0002BD5E
	v_add3_u32 v16, v94, v19, 1                                // 00000000A7FC: D1FF0010 0206275E
	v_cndmask_b32_e64 v4, v16, v18, s[46:47]                   // 00000000A804: D1000004 00BA2510
	v_cmp_u_f32_e64 s[46:47], v95, v95                         // 00000000A80C: D048002E 0002BF5F
	v_add3_u32 v16, v95, v19, 1                                // 00000000A814: D1FF0010 0206275F
	v_cndmask_b32_e64 v5, v16, v18, s[46:47]                   // 00000000A81C: D1000005 00BA2510
	v_perm_b32 v79, v5, v4, s52                                // 00000000A824: D1ED004F 00D20905
	v_cmp_u_f32_e64 s[46:47], v96, v96                         // 00000000A82C: D048002E 0002C160
	v_add3_u32 v16, v96, v19, 1                                // 00000000A834: D1FF0010 02062760
	v_cndmask_b32_e64 v4, v16, v18, s[46:47]                   // 00000000A83C: D1000004 00BA2510
	v_cmp_u_f32_e64 s[46:47], v97, v97                         // 00000000A844: D048002E 0002C361
	v_add3_u32 v16, v97, v19, 1                                // 00000000A84C: D1FF0010 02062761
	v_cndmask_b32_e64 v5, v16, v18, s[46:47]                   // 00000000A854: D1000005 00BA2510
	v_perm_b32 v80, v5, v4, s52                                // 00000000A85C: D1ED0050 00D20905
	v_cmp_u_f32_e64 s[46:47], v98, v98                         // 00000000A864: D048002E 0002C562
	v_add3_u32 v16, v98, v19, 1                                // 00000000A86C: D1FF0010 02062762
	v_cndmask_b32_e64 v4, v16, v18, s[46:47]                   // 00000000A874: D1000004 00BA2510
	v_cmp_u_f32_e64 s[46:47], v99, v99                         // 00000000A87C: D048002E 0002C763
	v_add3_u32 v16, v99, v19, 1                                // 00000000A884: D1FF0010 02062763
	v_cndmask_b32_e64 v5, v16, v18, s[46:47]                   // 00000000A88C: D1000005 00BA2510
	v_perm_b32 v81, v5, v4, s52                                // 00000000A894: D1ED0051 00D20905
	v_cmp_u_f32_e64 s[46:47], v100, v100                       // 00000000A89C: D048002E 0002C964
	v_add3_u32 v16, v100, v19, 1                               // 00000000A8A4: D1FF0010 02062764
	v_cndmask_b32_e64 v4, v16, v18, s[46:47]                   // 00000000A8AC: D1000004 00BA2510
	v_cmp_u_f32_e64 s[46:47], v101, v101                       // 00000000A8B4: D048002E 0002CB65
	v_add3_u32 v16, v101, v19, 1                               // 00000000A8BC: D1FF0010 02062765
	v_cndmask_b32_e64 v5, v16, v18, s[46:47]                   // 00000000A8C4: D1000005 00BA2510
	v_perm_b32 v82, v5, v4, s52                                // 00000000A8CC: D1ED0052 00D20905
	v_cmp_u_f32_e64 s[46:47], v102, v102                       // 00000000A8D4: D048002E 0002CD66
	v_add3_u32 v16, v102, v19, 1                               // 00000000A8DC: D1FF0010 02062766
	v_cndmask_b32_e64 v4, v16, v18, s[46:47]                   // 00000000A8E4: D1000004 00BA2510
	v_cmp_u_f32_e64 s[46:47], v103, v103                       // 00000000A8EC: D048002E 0002CF67
	v_add3_u32 v16, v103, v19, 1                               // 00000000A8F4: D1FF0010 02062767
	v_cndmask_b32_e64 v5, v16, v18, s[46:47]                   // 00000000A8FC: D1000005 00BA2510
	v_perm_b32 v83, v5, v4, s52                                // 00000000A904: D1ED0053 00D20905
	ds_write_b64 v20, v[64:65]                                 // 00000000A90C: D89A0000 00004014
	ds_write_b64 v20, v[66:67] offset:4352                     // 00000000A914: D89A1100 00004214
	ds_write_b64 v20, v[68:69] offset:8704                     // 00000000A91C: D89A2200 00004414
	ds_write_b64 v20, v[70:71] offset:13056                    // 00000000A924: D89A3300 00004614
	ds_write_b64 v20, v[72:73] offset:17408                    // 00000000A92C: D89A4400 00004814
	ds_write_b64 v20, v[74:75] offset:2176                     // 00000000A934: D89A0880 00004A14
	ds_write_b64 v20, v[76:77] offset:6528                     // 00000000A93C: D89A1980 00004C14
	ds_write_b64 v20, v[78:79] offset:10880                    // 00000000A944: D89A2A80 00004E14
	ds_write_b64 v20, v[80:81] offset:15232                    // 00000000A94C: D89A3B80 00005014
	ds_write_b64 v20, v[82:83] offset:19584                    // 00000000A954: D89A4C80 00005214
	v_lshrrev_b32_e32 v4, 5, v0                                // 00000000A95C: 20080085
	v_xor_b32_e32 v5, 1, v4                                    // 00000000A960: 2A0A0881
	s_mul_i32 s60, s65, 2                                      // 00000000A964: 923C8241
	s_cmp_eq_u32 s88, 0                                        // 00000000A968: BF068058
	s_cselect_b32 s61, 1, 4                                    // 00000000A96C: 853D8481
	s_mul_i32 s60, s61, s60                                    // 00000000A970: 923C3C3D
	v_readlane_b32 s82, v3, 0                                  // 00000000A974: D2890052 00010103
	s_lshr_b32 s61, s82, 24                                    // 00000000A97C: 8F3D9852
	s_and_b32 s82, s82, 0xffffff                               // 00000000A980: 8652FF52 00FFFFFF
	s_mul_i32 s82, s82, s71                                    // 00000000A988: 92524752
	s_mul_i32 s61, s60, s61                                    // 00000000A98C: 923D3D3C
	s_add_u32 s82, s82, s61                                    // 00000000A990: 80523D52
	v_mul_lo_u32 v6, v5, s82                                   // 00000000A994: D2850006 0000A505
	v_readlane_b32 s82, v3, 1                                  // 00000000A99C: D2890052 00010303
	s_lshr_b32 s61, s82, 24                                    // 00000000A9A4: 8F3D9852
	s_and_b32 s82, s82, 0xffffff                               // 00000000A9A8: 8652FF52 00FFFFFF
	s_mul_i32 s82, s82, s71                                    // 00000000A9B0: 92524752
	s_mul_i32 s61, s60, s61                                    // 00000000A9B4: 923D3D3C
	s_add_u32 s82, s82, s61                                    // 00000000A9B8: 80523D52
	v_mul_lo_u32 v7, v4, s82                                   // 00000000A9BC: D2850007 0000A504
	v_add_u32_e32 v50, v6, v7                                  // 00000000A9C4: 68640F06
	v_readlane_b32 s82, v3, 2                                  // 00000000A9C8: D2890052 00010503
	s_lshr_b32 s61, s82, 24                                    // 00000000A9D0: 8F3D9852
	s_and_b32 s82, s82, 0xffffff                               // 00000000A9D4: 8652FF52 00FFFFFF
	s_mul_i32 s82, s82, s71                                    // 00000000A9DC: 92524752
	s_mul_i32 s61, s60, s61                                    // 00000000A9E0: 923D3D3C
	s_add_u32 s82, s82, s61                                    // 00000000A9E4: 80523D52
	v_mul_lo_u32 v6, v5, s82                                   // 00000000A9E8: D2850006 0000A505
	v_readlane_b32 s82, v3, 3                                  // 00000000A9F0: D2890052 00010703
	s_lshr_b32 s61, s82, 24                                    // 00000000A9F8: 8F3D9852
	s_and_b32 s82, s82, 0xffffff                               // 00000000A9FC: 8652FF52 00FFFFFF
	s_mul_i32 s82, s82, s71                                    // 00000000AA04: 92524752
	s_mul_i32 s61, s60, s61                                    // 00000000AA08: 923D3D3C
	s_add_u32 s82, s82, s61                                    // 00000000AA0C: 80523D52
	v_mul_lo_u32 v7, v4, s82                                   // 00000000AA10: D2850007 0000A504
	v_add_u32_e32 v51, v6, v7                                  // 00000000AA18: 68660F06
	v_readlane_b32 s82, v3, 4                                  // 00000000AA1C: D2890052 00010903
	s_lshr_b32 s61, s82, 24                                    // 00000000AA24: 8F3D9852
	s_and_b32 s82, s82, 0xffffff                               // 00000000AA28: 8652FF52 00FFFFFF
	s_mul_i32 s82, s82, s71                                    // 00000000AA30: 92524752
	s_mul_i32 s61, s60, s61                                    // 00000000AA34: 923D3D3C
	s_add_u32 s82, s82, s61                                    // 00000000AA38: 80523D52
	v_mul_lo_u32 v6, v5, s82                                   // 00000000AA3C: D2850006 0000A505
	v_readlane_b32 s82, v3, 5                                  // 00000000AA44: D2890052 00010B03
	s_lshr_b32 s61, s82, 24                                    // 00000000AA4C: 8F3D9852
	s_and_b32 s82, s82, 0xffffff                               // 00000000AA50: 8652FF52 00FFFFFF
	s_mul_i32 s82, s82, s71                                    // 00000000AA58: 92524752
	s_mul_i32 s61, s60, s61                                    // 00000000AA5C: 923D3D3C
	s_add_u32 s82, s82, s61                                    // 00000000AA60: 80523D52
	v_mul_lo_u32 v7, v4, s82                                   // 00000000AA64: D2850007 0000A504
	v_add_u32_e32 v52, v6, v7                                  // 00000000AA6C: 68680F06
	v_readlane_b32 s82, v3, 6                                  // 00000000AA70: D2890052 00010D03
	s_lshr_b32 s61, s82, 24                                    // 00000000AA78: 8F3D9852
	s_and_b32 s82, s82, 0xffffff                               // 00000000AA7C: 8652FF52 00FFFFFF
	s_mul_i32 s82, s82, s71                                    // 00000000AA84: 92524752
	s_mul_i32 s61, s60, s61                                    // 00000000AA88: 923D3D3C
	s_add_u32 s82, s82, s61                                    // 00000000AA8C: 80523D52
	v_mul_lo_u32 v6, v5, s82                                   // 00000000AA90: D2850006 0000A505
	v_readlane_b32 s82, v3, 7                                  // 00000000AA98: D2890052 00010F03
	s_lshr_b32 s61, s82, 24                                    // 00000000AAA0: 8F3D9852
	s_and_b32 s82, s82, 0xffffff                               // 00000000AAA4: 8652FF52 00FFFFFF
	s_mul_i32 s82, s82, s71                                    // 00000000AAAC: 92524752
	s_mul_i32 s61, s60, s61                                    // 00000000AAB0: 923D3D3C
	s_add_u32 s82, s82, s61                                    // 00000000AAB4: 80523D52
	v_mul_lo_u32 v7, v4, s82                                   // 00000000AAB8: D2850007 0000A504
	v_add_u32_e32 v53, v6, v7                                  // 00000000AAC0: 686A0F06
	v_readlane_b32 s82, v3, 8                                  // 00000000AAC4: D2890052 00011103
	s_lshr_b32 s61, s82, 24                                    // 00000000AACC: 8F3D9852
	s_and_b32 s82, s82, 0xffffff                               // 00000000AAD0: 8652FF52 00FFFFFF
	s_mul_i32 s82, s82, s71                                    // 00000000AAD8: 92524752
	s_mul_i32 s61, s60, s61                                    // 00000000AADC: 923D3D3C
	s_add_u32 s82, s82, s61                                    // 00000000AAE0: 80523D52
	v_mul_lo_u32 v6, v5, s82                                   // 00000000AAE4: D2850006 0000A505
	v_readlane_b32 s82, v3, 9                                  // 00000000AAEC: D2890052 00011303
	s_lshr_b32 s61, s82, 24                                    // 00000000AAF4: 8F3D9852
	s_and_b32 s82, s82, 0xffffff                               // 00000000AAF8: 8652FF52 00FFFFFF
	s_mul_i32 s82, s82, s71                                    // 00000000AB00: 92524752
	s_mul_i32 s61, s60, s61                                    // 00000000AB04: 923D3D3C
	s_add_u32 s82, s82, s61                                    // 00000000AB08: 80523D52
	v_mul_lo_u32 v7, v4, s82                                   // 00000000AB0C: D2850007 0000A504
	v_add_u32_e32 v54, v6, v7                                  // 00000000AB14: 686C0F06
	v_readlane_b32 s82, v3, 10                                 // 00000000AB18: D2890052 00011503
	s_lshr_b32 s61, s82, 24                                    // 00000000AB20: 8F3D9852
	s_and_b32 s82, s82, 0xffffff                               // 00000000AB24: 8652FF52 00FFFFFF
	s_mul_i32 s82, s82, s71                                    // 00000000AB2C: 92524752
	s_mul_i32 s61, s60, s61                                    // 00000000AB30: 923D3D3C
	s_add_u32 s82, s82, s61                                    // 00000000AB34: 80523D52
	v_mul_lo_u32 v6, v5, s82                                   // 00000000AB38: D2850006 0000A505
	v_readlane_b32 s82, v3, 11                                 // 00000000AB40: D2890052 00011703
	s_lshr_b32 s61, s82, 24                                    // 00000000AB48: 8F3D9852
	s_and_b32 s82, s82, 0xffffff                               // 00000000AB4C: 8652FF52 00FFFFFF
	s_mul_i32 s82, s82, s71                                    // 00000000AB54: 92524752
	s_mul_i32 s61, s60, s61                                    // 00000000AB58: 923D3D3C
	s_add_u32 s82, s82, s61                                    // 00000000AB5C: 80523D52
	v_mul_lo_u32 v7, v4, s82                                   // 00000000AB60: D2850007 0000A504
	v_add_u32_e32 v55, v6, v7                                  // 00000000AB68: 686E0F06
	v_readlane_b32 s82, v3, 12                                 // 00000000AB6C: D2890052 00011903
	s_lshr_b32 s61, s82, 24                                    // 00000000AB74: 8F3D9852
	s_and_b32 s82, s82, 0xffffff                               // 00000000AB78: 8652FF52 00FFFFFF
	s_mul_i32 s82, s82, s71                                    // 00000000AB80: 92524752
	s_mul_i32 s61, s60, s61                                    // 00000000AB84: 923D3D3C
	s_add_u32 s82, s82, s61                                    // 00000000AB88: 80523D52
	v_mul_lo_u32 v6, v5, s82                                   // 00000000AB8C: D2850006 0000A505
	v_readlane_b32 s82, v3, 13                                 // 00000000AB94: D2890052 00011B03
	s_lshr_b32 s61, s82, 24                                    // 00000000AB9C: 8F3D9852
	s_and_b32 s82, s82, 0xffffff                               // 00000000ABA0: 8652FF52 00FFFFFF
	s_mul_i32 s82, s82, s71                                    // 00000000ABA8: 92524752
	s_mul_i32 s61, s60, s61                                    // 00000000ABAC: 923D3D3C
	s_add_u32 s82, s82, s61                                    // 00000000ABB0: 80523D52
	v_mul_lo_u32 v7, v4, s82                                   // 00000000ABB4: D2850007 0000A504
	v_add_u32_e32 v56, v6, v7                                  // 00000000ABBC: 68700F06
	v_readlane_b32 s82, v3, 14                                 // 00000000ABC0: D2890052 00011D03
	s_lshr_b32 s61, s82, 24                                    // 00000000ABC8: 8F3D9852
	s_and_b32 s82, s82, 0xffffff                               // 00000000ABCC: 8652FF52 00FFFFFF
	s_mul_i32 s82, s82, s71                                    // 00000000ABD4: 92524752
	s_mul_i32 s61, s60, s61                                    // 00000000ABD8: 923D3D3C
	s_add_u32 s82, s82, s61                                    // 00000000ABDC: 80523D52
	v_mul_lo_u32 v6, v5, s82                                   // 00000000ABE0: D2850006 0000A505
	v_readlane_b32 s82, v3, 15                                 // 00000000ABE8: D2890052 00011F03
	s_lshr_b32 s61, s82, 24                                    // 00000000ABF0: 8F3D9852
	s_and_b32 s82, s82, 0xffffff                               // 00000000ABF4: 8652FF52 00FFFFFF
	s_mul_i32 s82, s82, s71                                    // 00000000ABFC: 92524752
	s_mul_i32 s61, s60, s61                                    // 00000000AC00: 923D3D3C
	s_add_u32 s82, s82, s61                                    // 00000000AC04: 80523D52
	v_mul_lo_u32 v7, v4, s82                                   // 00000000AC08: D2850007 0000A504
	v_add_u32_e32 v57, v6, v7                                  // 00000000AC10: 68720F06
	v_readlane_b32 s82, v3, 16                                 // 00000000AC14: D2890052 00012103
	s_lshr_b32 s61, s82, 24                                    // 00000000AC1C: 8F3D9852
	s_and_b32 s82, s82, 0xffffff                               // 00000000AC20: 8652FF52 00FFFFFF
	s_mul_i32 s82, s82, s71                                    // 00000000AC28: 92524752
	s_mul_i32 s61, s60, s61                                    // 00000000AC2C: 923D3D3C
	s_add_u32 s82, s82, s61                                    // 00000000AC30: 80523D52
	v_mul_lo_u32 v6, v5, s82                                   // 00000000AC34: D2850006 0000A505
	v_readlane_b32 s82, v3, 17                                 // 00000000AC3C: D2890052 00012303
	s_lshr_b32 s61, s82, 24                                    // 00000000AC44: 8F3D9852
	s_and_b32 s82, s82, 0xffffff                               // 00000000AC48: 8652FF52 00FFFFFF
	s_mul_i32 s82, s82, s71                                    // 00000000AC50: 92524752
	s_mul_i32 s61, s60, s61                                    // 00000000AC54: 923D3D3C
	s_add_u32 s82, s82, s61                                    // 00000000AC58: 80523D52
	v_mul_lo_u32 v7, v4, s82                                   // 00000000AC5C: D2850007 0000A504
	v_add_u32_e32 v58, v6, v7                                  // 00000000AC64: 68740F06
	v_readlane_b32 s82, v3, 18                                 // 00000000AC68: D2890052 00012503
	s_lshr_b32 s61, s82, 24                                    // 00000000AC70: 8F3D9852
	s_and_b32 s82, s82, 0xffffff                               // 00000000AC74: 8652FF52 00FFFFFF
	s_mul_i32 s82, s82, s71                                    // 00000000AC7C: 92524752
	s_mul_i32 s61, s60, s61                                    // 00000000AC80: 923D3D3C
	s_add_u32 s82, s82, s61                                    // 00000000AC84: 80523D52
	v_mul_lo_u32 v6, v5, s82                                   // 00000000AC88: D2850006 0000A505
	v_readlane_b32 s82, v3, 19                                 // 00000000AC90: D2890052 00012703
	s_lshr_b32 s61, s82, 24                                    // 00000000AC98: 8F3D9852
	s_and_b32 s82, s82, 0xffffff                               // 00000000AC9C: 8652FF52 00FFFFFF
	s_mul_i32 s82, s82, s71                                    // 00000000ACA4: 92524752
	s_mul_i32 s61, s60, s61                                    // 00000000ACA8: 923D3D3C
	s_add_u32 s82, s82, s61                                    // 00000000ACAC: 80523D52
	v_mul_lo_u32 v7, v4, s82                                   // 00000000ACB0: D2850007 0000A504
	v_add_u32_e32 v59, v6, v7                                  // 00000000ACB8: 68760F06
	v_and_b32_e32 v4, 31, v0                                   // 00000000ACBC: 2608009F
	v_lshrrev_b32_e32 v4, 1, v4                                // 00000000ACC0: 20080881
	s_cmp_eq_u32 s88, 0                                        // 00000000ACC4: BF068058
	s_cselect_b32 s61, 2, 4                                    // 00000000ACC8: 853D8482
	v_mul_lo_u32 v4, v4, s61                                   // 00000000ACCC: D2850004 00007B04
	v_and_b32_e64 v5, v0, 1                                    // 00000000ACD4: D1130005 00010300
	v_add_u32_e32 v4, v4, v5                                   // 00000000ACDC: 68080B04
	v_lshlrev_b32_e32 v4, 2, v4                                // 00000000ACE0: 24080882
	v_add_u32_e32 v50, v50, v4                                 // 00000000ACE4: 68640932
	v_add_u32_e32 v51, v51, v4                                 // 00000000ACE8: 68660933
	v_add_u32_e32 v52, v52, v4                                 // 00000000ACEC: 68680934
	v_add_u32_e32 v53, v53, v4                                 // 00000000ACF0: 686A0935
	v_add_u32_e32 v54, v54, v4                                 // 00000000ACF4: 686C0936
	v_add_u32_e32 v55, v55, v4                                 // 00000000ACF8: 686E0937
	v_add_u32_e32 v56, v56, v4                                 // 00000000ACFC: 68700938
	v_add_u32_e32 v57, v57, v4                                 // 00000000AD00: 68720939
	v_add_u32_e32 v58, v58, v4                                 // 00000000AD04: 6874093A
	v_add_u32_e32 v59, v59, v4                                 // 00000000AD08: 6876093B
	s_waitcnt lgkmcnt(0)                                       // 00000000AD0C: BF8CC07F
	s_barrier                                                  // 00000000AD10: BF8A0000
	ds_read_b32 v64, v21                                       // 00000000AD14: D86C0000 40000015
	ds_read_b32 v65, v21 offset:64                             // 00000000AD1C: D86C0040 41000015
	ds_read_b32 v66, v21 offset:2176                           // 00000000AD24: D86C0880 42000015
	ds_read_b32 v67, v21 offset:2240                           // 00000000AD2C: D86C08C0 43000015
	ds_read_b32 v68, v21 offset:4352                           // 00000000AD34: D86C1100 44000015
	ds_read_b32 v69, v21 offset:4416                           // 00000000AD3C: D86C1140 45000015
	ds_read_b32 v70, v21 offset:6528                           // 00000000AD44: D86C1980 46000015
	ds_read_b32 v71, v21 offset:6592                           // 00000000AD4C: D86C19C0 47000015
	ds_read_b32 v72, v21 offset:8704                           // 00000000AD54: D86C2200 48000015
	ds_read_b32 v73, v21 offset:8768                           // 00000000AD5C: D86C2240 49000015
	ds_read_b32 v74, v21 offset:10880                          // 00000000AD64: D86C2A80 4A000015
	ds_read_b32 v75, v21 offset:10944                          // 00000000AD6C: D86C2AC0 4B000015
	ds_read_b32 v76, v21 offset:13056                          // 00000000AD74: D86C3300 4C000015
	ds_read_b32 v77, v21 offset:13120                          // 00000000AD7C: D86C3340 4D000015
	ds_read_b32 v78, v21 offset:15232                          // 00000000AD84: D86C3B80 4E000015
	ds_read_b32 v79, v21 offset:15296                          // 00000000AD8C: D86C3BC0 4F000015
	ds_read_b32 v80, v21 offset:17408                          // 00000000AD94: D86C4400 50000015
	ds_read_b32 v81, v21 offset:17472                          // 00000000AD9C: D86C4440 51000015
	ds_read_b32 v82, v21 offset:19584                          // 00000000ADA4: D86C4C80 52000015
	ds_read_b32 v83, v21 offset:19648                          // 00000000ADAC: D86C4CC0 53000015
	s_waitcnt lgkmcnt(0)                                       // 00000000ADB4: BF8CC07F
	s_mov_b32 s36, -1                                          // 00000000ADB8: BEA400C1
	s_mov_b32 s37, -1                                          // 00000000ADBC: BEA500C1
	v_mov_b32_e32 v7, 0                                        // 00000000ADC0: 7E0E0280
	s_or_b32 s9, s9, 0x40000                                   // 00000000ADC4: 8709FF09 00040000
	s_mov_b64 exec, s[36:37]                                   // 00000000ADCC: BEFE0124
	v_mov_b32_e32 v6, v50                                      // 00000000ADD0: 7E0C0332
	s_mov_b64 s[60:61], 0                                      // 00000000ADD4: BEBC0180
	v_readlane_b32 s82, v3, 0                                  // 00000000ADD8: D2890052 00010103
	s_and_b32 s82, s82, 0xffffff                               // 00000000ADE0: 8652FF52 00FFFFFF
	s_cmp_lt_u32 s82, s66                                      // 00000000ADE8: BF0A4252
	s_cselect_b32 s20, s36, s60                                // 00000000ADEC: 85143C24
	v_readlane_b32 s82, v3, 1                                  // 00000000ADF0: D2890052 00010303
	s_and_b32 s82, s82, 0xffffff                               // 00000000ADF8: 8652FF52 00FFFFFF
	s_cmp_lt_u32 s82, s66                                      // 00000000AE00: BF0A4252
	s_cselect_b32 s21, s36, s60                                // 00000000AE04: 85153C24
	s_mov_b64 exec, s[20:21]                                   // 00000000AE08: BEFE0114
	buffer_store_dword v64, v6, s[8:11], 0 offen               // 00000000AE0C: E0701000 80024006
	buffer_store_dword v66, v6, s[8:11], 0 offen offset:128    // 00000000AE14: E0701080 80024206
	s_mov_b64 exec, s[36:37]                                   // 00000000AE1C: BEFE0124
	v_mov_b32_e32 v6, v51                                      // 00000000AE20: 7E0C0333
	s_mov_b64 s[60:61], 0                                      // 00000000AE24: BEBC0180
	v_readlane_b32 s82, v3, 2                                  // 00000000AE28: D2890052 00010503
	s_and_b32 s82, s82, 0xffffff                               // 00000000AE30: 8652FF52 00FFFFFF
	s_cmp_lt_u32 s82, s66                                      // 00000000AE38: BF0A4252
	s_cselect_b32 s20, s36, s60                                // 00000000AE3C: 85143C24
	v_readlane_b32 s82, v3, 3                                  // 00000000AE40: D2890052 00010703
	s_and_b32 s82, s82, 0xffffff                               // 00000000AE48: 8652FF52 00FFFFFF
	s_cmp_lt_u32 s82, s66                                      // 00000000AE50: BF0A4252
	s_cselect_b32 s21, s36, s60                                // 00000000AE54: 85153C24
	s_mov_b64 exec, s[20:21]                                   // 00000000AE58: BEFE0114
	buffer_store_dword v65, v6, s[8:11], 0 offen               // 00000000AE5C: E0701000 80024106
	buffer_store_dword v67, v6, s[8:11], 0 offen offset:128    // 00000000AE64: E0701080 80024306
	s_mov_b64 exec, s[36:37]                                   // 00000000AE6C: BEFE0124
	v_mov_b32_e32 v6, v52                                      // 00000000AE70: 7E0C0334
	s_mov_b64 s[60:61], 0                                      // 00000000AE74: BEBC0180
	v_readlane_b32 s82, v3, 4                                  // 00000000AE78: D2890052 00010903
	s_and_b32 s82, s82, 0xffffff                               // 00000000AE80: 8652FF52 00FFFFFF
	s_cmp_lt_u32 s82, s66                                      // 00000000AE88: BF0A4252
	s_cselect_b32 s20, s36, s60                                // 00000000AE8C: 85143C24
	v_readlane_b32 s82, v3, 5                                  // 00000000AE90: D2890052 00010B03
	s_and_b32 s82, s82, 0xffffff                               // 00000000AE98: 8652FF52 00FFFFFF
	s_cmp_lt_u32 s82, s66                                      // 00000000AEA0: BF0A4252
	s_cselect_b32 s21, s36, s60                                // 00000000AEA4: 85153C24
	s_mov_b64 exec, s[20:21]                                   // 00000000AEA8: BEFE0114
	buffer_store_dword v68, v6, s[8:11], 0 offen               // 00000000AEAC: E0701000 80024406
	buffer_store_dword v70, v6, s[8:11], 0 offen offset:128    // 00000000AEB4: E0701080 80024606
	s_mov_b64 exec, s[36:37]                                   // 00000000AEBC: BEFE0124
	v_mov_b32_e32 v6, v53                                      // 00000000AEC0: 7E0C0335
	s_mov_b64 s[60:61], 0                                      // 00000000AEC4: BEBC0180
	v_readlane_b32 s82, v3, 6                                  // 00000000AEC8: D2890052 00010D03
	s_and_b32 s82, s82, 0xffffff                               // 00000000AED0: 8652FF52 00FFFFFF
	s_cmp_lt_u32 s82, s66                                      // 00000000AED8: BF0A4252
	s_cselect_b32 s20, s36, s60                                // 00000000AEDC: 85143C24
	v_readlane_b32 s82, v3, 7                                  // 00000000AEE0: D2890052 00010F03
	s_and_b32 s82, s82, 0xffffff                               // 00000000AEE8: 8652FF52 00FFFFFF
	s_cmp_lt_u32 s82, s66                                      // 00000000AEF0: BF0A4252
	s_cselect_b32 s21, s36, s60                                // 00000000AEF4: 85153C24
	s_mov_b64 exec, s[20:21]                                   // 00000000AEF8: BEFE0114
	buffer_store_dword v69, v6, s[8:11], 0 offen               // 00000000AEFC: E0701000 80024506
	buffer_store_dword v71, v6, s[8:11], 0 offen offset:128    // 00000000AF04: E0701080 80024706
	s_mov_b64 exec, s[36:37]                                   // 00000000AF0C: BEFE0124
	v_mov_b32_e32 v6, v54                                      // 00000000AF10: 7E0C0336
	s_mov_b64 s[60:61], 0                                      // 00000000AF14: BEBC0180
	v_readlane_b32 s82, v3, 8                                  // 00000000AF18: D2890052 00011103
	s_and_b32 s82, s82, 0xffffff                               // 00000000AF20: 8652FF52 00FFFFFF
	s_cmp_lt_u32 s82, s66                                      // 00000000AF28: BF0A4252
	s_cselect_b32 s20, s36, s60                                // 00000000AF2C: 85143C24
	v_readlane_b32 s82, v3, 9                                  // 00000000AF30: D2890052 00011303
	s_and_b32 s82, s82, 0xffffff                               // 00000000AF38: 8652FF52 00FFFFFF
	s_cmp_lt_u32 s82, s66                                      // 00000000AF40: BF0A4252
	s_cselect_b32 s21, s36, s60                                // 00000000AF44: 85153C24
	s_mov_b64 exec, s[20:21]                                   // 00000000AF48: BEFE0114
	buffer_store_dword v72, v6, s[8:11], 0 offen               // 00000000AF4C: E0701000 80024806
	buffer_store_dword v74, v6, s[8:11], 0 offen offset:128    // 00000000AF54: E0701080 80024A06
	s_mov_b64 exec, s[36:37]                                   // 00000000AF5C: BEFE0124
	v_mov_b32_e32 v6, v55                                      // 00000000AF60: 7E0C0337
	s_mov_b64 s[60:61], 0                                      // 00000000AF64: BEBC0180
	v_readlane_b32 s82, v3, 10                                 // 00000000AF68: D2890052 00011503
	s_and_b32 s82, s82, 0xffffff                               // 00000000AF70: 8652FF52 00FFFFFF
	s_cmp_lt_u32 s82, s66                                      // 00000000AF78: BF0A4252
	s_cselect_b32 s20, s36, s60                                // 00000000AF7C: 85143C24
	v_readlane_b32 s82, v3, 11                                 // 00000000AF80: D2890052 00011703
	s_and_b32 s82, s82, 0xffffff                               // 00000000AF88: 8652FF52 00FFFFFF
	s_cmp_lt_u32 s82, s66                                      // 00000000AF90: BF0A4252
	s_cselect_b32 s21, s36, s60                                // 00000000AF94: 85153C24
	s_mov_b64 exec, s[20:21]                                   // 00000000AF98: BEFE0114
	buffer_store_dword v73, v6, s[8:11], 0 offen               // 00000000AF9C: E0701000 80024906
	buffer_store_dword v75, v6, s[8:11], 0 offen offset:128    // 00000000AFA4: E0701080 80024B06
	s_mov_b64 exec, s[36:37]                                   // 00000000AFAC: BEFE0124
	v_mov_b32_e32 v6, v56                                      // 00000000AFB0: 7E0C0338
	s_mov_b64 s[60:61], 0                                      // 00000000AFB4: BEBC0180
	v_readlane_b32 s82, v3, 12                                 // 00000000AFB8: D2890052 00011903
	s_and_b32 s82, s82, 0xffffff                               // 00000000AFC0: 8652FF52 00FFFFFF
	s_cmp_lt_u32 s82, s66                                      // 00000000AFC8: BF0A4252
	s_cselect_b32 s20, s36, s60                                // 00000000AFCC: 85143C24
	v_readlane_b32 s82, v3, 13                                 // 00000000AFD0: D2890052 00011B03
	s_and_b32 s82, s82, 0xffffff                               // 00000000AFD8: 8652FF52 00FFFFFF
	s_cmp_lt_u32 s82, s66                                      // 00000000AFE0: BF0A4252
	s_cselect_b32 s21, s36, s60                                // 00000000AFE4: 85153C24
	s_mov_b64 exec, s[20:21]                                   // 00000000AFE8: BEFE0114
	buffer_store_dword v76, v6, s[8:11], 0 offen               // 00000000AFEC: E0701000 80024C06
	buffer_store_dword v78, v6, s[8:11], 0 offen offset:128    // 00000000AFF4: E0701080 80024E06
	s_mov_b64 exec, s[36:37]                                   // 00000000AFFC: BEFE0124
	v_mov_b32_e32 v6, v57                                      // 00000000B000: 7E0C0339
	s_mov_b64 s[60:61], 0                                      // 00000000B004: BEBC0180
	v_readlane_b32 s82, v3, 14                                 // 00000000B008: D2890052 00011D03
	s_and_b32 s82, s82, 0xffffff                               // 00000000B010: 8652FF52 00FFFFFF
	s_cmp_lt_u32 s82, s66                                      // 00000000B018: BF0A4252
	s_cselect_b32 s20, s36, s60                                // 00000000B01C: 85143C24
	v_readlane_b32 s82, v3, 15                                 // 00000000B020: D2890052 00011F03
	s_and_b32 s82, s82, 0xffffff                               // 00000000B028: 8652FF52 00FFFFFF
	s_cmp_lt_u32 s82, s66                                      // 00000000B030: BF0A4252
	s_cselect_b32 s21, s36, s60                                // 00000000B034: 85153C24
	s_mov_b64 exec, s[20:21]                                   // 00000000B038: BEFE0114
	buffer_store_dword v77, v6, s[8:11], 0 offen               // 00000000B03C: E0701000 80024D06
	buffer_store_dword v79, v6, s[8:11], 0 offen offset:128    // 00000000B044: E0701080 80024F06
	s_mov_b64 exec, s[36:37]                                   // 00000000B04C: BEFE0124
	v_mov_b32_e32 v6, v58                                      // 00000000B050: 7E0C033A
	s_mov_b64 s[60:61], 0                                      // 00000000B054: BEBC0180
	v_readlane_b32 s82, v3, 16                                 // 00000000B058: D2890052 00012103
	s_and_b32 s82, s82, 0xffffff                               // 00000000B060: 8652FF52 00FFFFFF
	s_cmp_lt_u32 s82, s66                                      // 00000000B068: BF0A4252
	s_cselect_b32 s20, s36, s60                                // 00000000B06C: 85143C24
	v_readlane_b32 s82, v3, 17                                 // 00000000B070: D2890052 00012303
	s_and_b32 s82, s82, 0xffffff                               // 00000000B078: 8652FF52 00FFFFFF
	s_cmp_lt_u32 s82, s66                                      // 00000000B080: BF0A4252
	s_cselect_b32 s21, s36, s60                                // 00000000B084: 85153C24
	s_mov_b64 exec, s[20:21]                                   // 00000000B088: BEFE0114
	buffer_store_dword v80, v6, s[8:11], 0 offen               // 00000000B08C: E0701000 80025006
	buffer_store_dword v82, v6, s[8:11], 0 offen offset:128    // 00000000B094: E0701080 80025206
	s_mov_b64 exec, s[36:37]                                   // 00000000B09C: BEFE0124
	v_mov_b32_e32 v6, v59                                      // 00000000B0A0: 7E0C033B
	s_mov_b64 s[60:61], 0                                      // 00000000B0A4: BEBC0180
	v_readlane_b32 s82, v3, 18                                 // 00000000B0A8: D2890052 00012503
	s_and_b32 s82, s82, 0xffffff                               // 00000000B0B0: 8652FF52 00FFFFFF
	s_cmp_lt_u32 s82, s66                                      // 00000000B0B8: BF0A4252
	s_cselect_b32 s20, s36, s60                                // 00000000B0BC: 85143C24
	v_readlane_b32 s82, v3, 19                                 // 00000000B0C0: D2890052 00012703
	s_and_b32 s82, s82, 0xffffff                               // 00000000B0C8: 8652FF52 00FFFFFF
	s_cmp_lt_u32 s82, s66                                      // 00000000B0D0: BF0A4252
	s_cselect_b32 s21, s36, s60                                // 00000000B0D4: 85153C24
	s_mov_b64 exec, s[20:21]                                   // 00000000B0D8: BEFE0114
	buffer_store_dword v81, v6, s[8:11], 0 offen               // 00000000B0DC: E0701000 80025106
	buffer_store_dword v83, v6, s[8:11], 0 offen offset:128    // 00000000B0E4: E0701080 80025306
	s_mov_b64 exec, s[36:37]                                   // 00000000B0EC: BEFE0124
	s_branch label_26D6                                        // 00000000B0F0: BF820516

000000000000b0f4 <label_21C0>:
	ds_write_b64 v20, v[64:65]                                 // 00000000B0F4: D89A0000 00004014
	ds_write_b64 v20, v[68:69] offset:4352                     // 00000000B0FC: D89A1100 00004414
	ds_write_b64 v20, v[72:73] offset:8704                     // 00000000B104: D89A2200 00004814
	ds_write_b64 v20, v[76:77] offset:13056                    // 00000000B10C: D89A3300 00004C14
	ds_write_b64 v20, v[80:81] offset:17408                    // 00000000B114: D89A4400 00005014
	ds_write_b64 v20, v[84:85] offset:2176                     // 00000000B11C: D89A0880 00005414
	ds_write_b64 v20, v[88:89] offset:6528                     // 00000000B124: D89A1980 00005814
	ds_write_b64 v20, v[92:93] offset:10880                    // 00000000B12C: D89A2A80 00005C14
	ds_write_b64 v20, v[96:97] offset:15232                    // 00000000B134: D89A3B80 00006014
	ds_write_b64 v20, v[100:101] offset:19584                  // 00000000B13C: D89A4C80 00006414
	v_lshrrev_b32_e32 v4, 5, v0                                // 00000000B144: 20080085
	v_xor_b32_e32 v5, 1, v4                                    // 00000000B148: 2A0A0881
	s_mul_i32 s60, s65, 2                                      // 00000000B14C: 923C8241
	s_cmp_eq_u32 s88, 0                                        // 00000000B150: BF068058
	s_cselect_b32 s61, 1, 4                                    // 00000000B154: 853D8481
	s_mul_i32 s60, s61, s60                                    // 00000000B158: 923C3C3D
	v_readlane_b32 s82, v3, 0                                  // 00000000B15C: D2890052 00010103
	s_lshr_b32 s61, s82, 24                                    // 00000000B164: 8F3D9852
	s_and_b32 s82, s82, 0xffffff                               // 00000000B168: 8652FF52 00FFFFFF
	s_mul_i32 s82, s82, s71                                    // 00000000B170: 92524752
	s_mul_i32 s61, s60, s61                                    // 00000000B174: 923D3D3C
	s_add_u32 s82, s82, s61                                    // 00000000B178: 80523D52
	v_mul_lo_u32 v6, v5, s82                                   // 00000000B17C: D2850006 0000A505
	v_readlane_b32 s82, v3, 1                                  // 00000000B184: D2890052 00010303
	s_lshr_b32 s61, s82, 24                                    // 00000000B18C: 8F3D9852
	s_and_b32 s82, s82, 0xffffff                               // 00000000B190: 8652FF52 00FFFFFF
	s_mul_i32 s82, s82, s71                                    // 00000000B198: 92524752
	s_mul_i32 s61, s60, s61                                    // 00000000B19C: 923D3D3C
	s_add_u32 s82, s82, s61                                    // 00000000B1A0: 80523D52
	v_mul_lo_u32 v7, v4, s82                                   // 00000000B1A4: D2850007 0000A504
	v_add_u32_e32 v50, v6, v7                                  // 00000000B1AC: 68640F06
	v_readlane_b32 s82, v3, 2                                  // 00000000B1B0: D2890052 00010503
	s_lshr_b32 s61, s82, 24                                    // 00000000B1B8: 8F3D9852
	s_and_b32 s82, s82, 0xffffff                               // 00000000B1BC: 8652FF52 00FFFFFF
	s_mul_i32 s82, s82, s71                                    // 00000000B1C4: 92524752
	s_mul_i32 s61, s60, s61                                    // 00000000B1C8: 923D3D3C
	s_add_u32 s82, s82, s61                                    // 00000000B1CC: 80523D52
	v_mul_lo_u32 v6, v5, s82                                   // 00000000B1D0: D2850006 0000A505
	v_readlane_b32 s82, v3, 3                                  // 00000000B1D8: D2890052 00010703
	s_lshr_b32 s61, s82, 24                                    // 00000000B1E0: 8F3D9852
	s_and_b32 s82, s82, 0xffffff                               // 00000000B1E4: 8652FF52 00FFFFFF
	s_mul_i32 s82, s82, s71                                    // 00000000B1EC: 92524752
	s_mul_i32 s61, s60, s61                                    // 00000000B1F0: 923D3D3C
	s_add_u32 s82, s82, s61                                    // 00000000B1F4: 80523D52
	v_mul_lo_u32 v7, v4, s82                                   // 00000000B1F8: D2850007 0000A504
	v_add_u32_e32 v51, v6, v7                                  // 00000000B200: 68660F06
	v_readlane_b32 s82, v3, 4                                  // 00000000B204: D2890052 00010903
	s_lshr_b32 s61, s82, 24                                    // 00000000B20C: 8F3D9852
	s_and_b32 s82, s82, 0xffffff                               // 00000000B210: 8652FF52 00FFFFFF
	s_mul_i32 s82, s82, s71                                    // 00000000B218: 92524752
	s_mul_i32 s61, s60, s61                                    // 00000000B21C: 923D3D3C
	s_add_u32 s82, s82, s61                                    // 00000000B220: 80523D52
	v_mul_lo_u32 v6, v5, s82                                   // 00000000B224: D2850006 0000A505
	v_readlane_b32 s82, v3, 5                                  // 00000000B22C: D2890052 00010B03
	s_lshr_b32 s61, s82, 24                                    // 00000000B234: 8F3D9852
	s_and_b32 s82, s82, 0xffffff                               // 00000000B238: 8652FF52 00FFFFFF
	s_mul_i32 s82, s82, s71                                    // 00000000B240: 92524752
	s_mul_i32 s61, s60, s61                                    // 00000000B244: 923D3D3C
	s_add_u32 s82, s82, s61                                    // 00000000B248: 80523D52
	v_mul_lo_u32 v7, v4, s82                                   // 00000000B24C: D2850007 0000A504
	v_add_u32_e32 v52, v6, v7                                  // 00000000B254: 68680F06
	v_readlane_b32 s82, v3, 6                                  // 00000000B258: D2890052 00010D03
	s_lshr_b32 s61, s82, 24                                    // 00000000B260: 8F3D9852
	s_and_b32 s82, s82, 0xffffff                               // 00000000B264: 8652FF52 00FFFFFF
	s_mul_i32 s82, s82, s71                                    // 00000000B26C: 92524752
	s_mul_i32 s61, s60, s61                                    // 00000000B270: 923D3D3C
	s_add_u32 s82, s82, s61                                    // 00000000B274: 80523D52
	v_mul_lo_u32 v6, v5, s82                                   // 00000000B278: D2850006 0000A505
	v_readlane_b32 s82, v3, 7                                  // 00000000B280: D2890052 00010F03
	s_lshr_b32 s61, s82, 24                                    // 00000000B288: 8F3D9852
	s_and_b32 s82, s82, 0xffffff                               // 00000000B28C: 8652FF52 00FFFFFF
	s_mul_i32 s82, s82, s71                                    // 00000000B294: 92524752
	s_mul_i32 s61, s60, s61                                    // 00000000B298: 923D3D3C
	s_add_u32 s82, s82, s61                                    // 00000000B29C: 80523D52
	v_mul_lo_u32 v7, v4, s82                                   // 00000000B2A0: D2850007 0000A504
	v_add_u32_e32 v53, v6, v7                                  // 00000000B2A8: 686A0F06
	v_readlane_b32 s82, v3, 8                                  // 00000000B2AC: D2890052 00011103
	s_lshr_b32 s61, s82, 24                                    // 00000000B2B4: 8F3D9852
	s_and_b32 s82, s82, 0xffffff                               // 00000000B2B8: 8652FF52 00FFFFFF
	s_mul_i32 s82, s82, s71                                    // 00000000B2C0: 92524752
	s_mul_i32 s61, s60, s61                                    // 00000000B2C4: 923D3D3C
	s_add_u32 s82, s82, s61                                    // 00000000B2C8: 80523D52
	v_mul_lo_u32 v6, v5, s82                                   // 00000000B2CC: D2850006 0000A505
	v_readlane_b32 s82, v3, 9                                  // 00000000B2D4: D2890052 00011303
	s_lshr_b32 s61, s82, 24                                    // 00000000B2DC: 8F3D9852
	s_and_b32 s82, s82, 0xffffff                               // 00000000B2E0: 8652FF52 00FFFFFF
	s_mul_i32 s82, s82, s71                                    // 00000000B2E8: 92524752
	s_mul_i32 s61, s60, s61                                    // 00000000B2EC: 923D3D3C
	s_add_u32 s82, s82, s61                                    // 00000000B2F0: 80523D52
	v_mul_lo_u32 v7, v4, s82                                   // 00000000B2F4: D2850007 0000A504
	v_add_u32_e32 v54, v6, v7                                  // 00000000B2FC: 686C0F06
	v_readlane_b32 s82, v3, 10                                 // 00000000B300: D2890052 00011503
	s_lshr_b32 s61, s82, 24                                    // 00000000B308: 8F3D9852
	s_and_b32 s82, s82, 0xffffff                               // 00000000B30C: 8652FF52 00FFFFFF
	s_mul_i32 s82, s82, s71                                    // 00000000B314: 92524752
	s_mul_i32 s61, s60, s61                                    // 00000000B318: 923D3D3C
	s_add_u32 s82, s82, s61                                    // 00000000B31C: 80523D52
	v_mul_lo_u32 v6, v5, s82                                   // 00000000B320: D2850006 0000A505
	v_readlane_b32 s82, v3, 11                                 // 00000000B328: D2890052 00011703
	s_lshr_b32 s61, s82, 24                                    // 00000000B330: 8F3D9852
	s_and_b32 s82, s82, 0xffffff                               // 00000000B334: 8652FF52 00FFFFFF
	s_mul_i32 s82, s82, s71                                    // 00000000B33C: 92524752
	s_mul_i32 s61, s60, s61                                    // 00000000B340: 923D3D3C
	s_add_u32 s82, s82, s61                                    // 00000000B344: 80523D52
	v_mul_lo_u32 v7, v4, s82                                   // 00000000B348: D2850007 0000A504
	v_add_u32_e32 v55, v6, v7                                  // 00000000B350: 686E0F06
	v_readlane_b32 s82, v3, 12                                 // 00000000B354: D2890052 00011903
	s_lshr_b32 s61, s82, 24                                    // 00000000B35C: 8F3D9852
	s_and_b32 s82, s82, 0xffffff                               // 00000000B360: 8652FF52 00FFFFFF
	s_mul_i32 s82, s82, s71                                    // 00000000B368: 92524752
	s_mul_i32 s61, s60, s61                                    // 00000000B36C: 923D3D3C
	s_add_u32 s82, s82, s61                                    // 00000000B370: 80523D52
	v_mul_lo_u32 v6, v5, s82                                   // 00000000B374: D2850006 0000A505
	v_readlane_b32 s82, v3, 13                                 // 00000000B37C: D2890052 00011B03
	s_lshr_b32 s61, s82, 24                                    // 00000000B384: 8F3D9852
	s_and_b32 s82, s82, 0xffffff                               // 00000000B388: 8652FF52 00FFFFFF
	s_mul_i32 s82, s82, s71                                    // 00000000B390: 92524752
	s_mul_i32 s61, s60, s61                                    // 00000000B394: 923D3D3C
	s_add_u32 s82, s82, s61                                    // 00000000B398: 80523D52
	v_mul_lo_u32 v7, v4, s82                                   // 00000000B39C: D2850007 0000A504
	v_add_u32_e32 v56, v6, v7                                  // 00000000B3A4: 68700F06
	v_readlane_b32 s82, v3, 14                                 // 00000000B3A8: D2890052 00011D03
	s_lshr_b32 s61, s82, 24                                    // 00000000B3B0: 8F3D9852
	s_and_b32 s82, s82, 0xffffff                               // 00000000B3B4: 8652FF52 00FFFFFF
	s_mul_i32 s82, s82, s71                                    // 00000000B3BC: 92524752
	s_mul_i32 s61, s60, s61                                    // 00000000B3C0: 923D3D3C
	s_add_u32 s82, s82, s61                                    // 00000000B3C4: 80523D52
	v_mul_lo_u32 v6, v5, s82                                   // 00000000B3C8: D2850006 0000A505
	v_readlane_b32 s82, v3, 15                                 // 00000000B3D0: D2890052 00011F03
	s_lshr_b32 s61, s82, 24                                    // 00000000B3D8: 8F3D9852
	s_and_b32 s82, s82, 0xffffff                               // 00000000B3DC: 8652FF52 00FFFFFF
	s_mul_i32 s82, s82, s71                                    // 00000000B3E4: 92524752
	s_mul_i32 s61, s60, s61                                    // 00000000B3E8: 923D3D3C
	s_add_u32 s82, s82, s61                                    // 00000000B3EC: 80523D52
	v_mul_lo_u32 v7, v4, s82                                   // 00000000B3F0: D2850007 0000A504
	v_add_u32_e32 v57, v6, v7                                  // 00000000B3F8: 68720F06
	v_readlane_b32 s82, v3, 16                                 // 00000000B3FC: D2890052 00012103
	s_lshr_b32 s61, s82, 24                                    // 00000000B404: 8F3D9852
	s_and_b32 s82, s82, 0xffffff                               // 00000000B408: 8652FF52 00FFFFFF
	s_mul_i32 s82, s82, s71                                    // 00000000B410: 92524752
	s_mul_i32 s61, s60, s61                                    // 00000000B414: 923D3D3C
	s_add_u32 s82, s82, s61                                    // 00000000B418: 80523D52
	v_mul_lo_u32 v6, v5, s82                                   // 00000000B41C: D2850006 0000A505
	v_readlane_b32 s82, v3, 17                                 // 00000000B424: D2890052 00012303
	s_lshr_b32 s61, s82, 24                                    // 00000000B42C: 8F3D9852
	s_and_b32 s82, s82, 0xffffff                               // 00000000B430: 8652FF52 00FFFFFF
	s_mul_i32 s82, s82, s71                                    // 00000000B438: 92524752
	s_mul_i32 s61, s60, s61                                    // 00000000B43C: 923D3D3C
	s_add_u32 s82, s82, s61                                    // 00000000B440: 80523D52
	v_mul_lo_u32 v7, v4, s82                                   // 00000000B444: D2850007 0000A504
	v_add_u32_e32 v58, v6, v7                                  // 00000000B44C: 68740F06
	v_readlane_b32 s82, v3, 18                                 // 00000000B450: D2890052 00012503
	s_lshr_b32 s61, s82, 24                                    // 00000000B458: 8F3D9852
	s_and_b32 s82, s82, 0xffffff                               // 00000000B45C: 8652FF52 00FFFFFF
	s_mul_i32 s82, s82, s71                                    // 00000000B464: 92524752
	s_mul_i32 s61, s60, s61                                    // 00000000B468: 923D3D3C
	s_add_u32 s82, s82, s61                                    // 00000000B46C: 80523D52
	v_mul_lo_u32 v6, v5, s82                                   // 00000000B470: D2850006 0000A505
	v_readlane_b32 s82, v3, 19                                 // 00000000B478: D2890052 00012703
	s_lshr_b32 s61, s82, 24                                    // 00000000B480: 8F3D9852
	s_and_b32 s82, s82, 0xffffff                               // 00000000B484: 8652FF52 00FFFFFF
	s_mul_i32 s82, s82, s71                                    // 00000000B48C: 92524752
	s_mul_i32 s61, s60, s61                                    // 00000000B490: 923D3D3C
	s_add_u32 s82, s82, s61                                    // 00000000B494: 80523D52
	v_mul_lo_u32 v7, v4, s82                                   // 00000000B498: D2850007 0000A504
	v_add_u32_e32 v59, v6, v7                                  // 00000000B4A0: 68760F06
	v_and_b32_e32 v4, 31, v0                                   // 00000000B4A4: 2608009F
	v_lshrrev_b32_e32 v4, 1, v4                                // 00000000B4A8: 20080881
	s_cmp_eq_u32 s88, 0                                        // 00000000B4AC: BF068058
	s_cselect_b32 s61, 2, 4                                    // 00000000B4B0: 853D8482
	v_mul_lo_u32 v4, v4, s61                                   // 00000000B4B4: D2850004 00007B04
	v_and_b32_e64 v5, v0, 1                                    // 00000000B4BC: D1130005 00010300
	v_add_u32_e32 v4, v4, v5                                   // 00000000B4C4: 68080B04
	v_lshlrev_b32_e32 v4, 2, v4                                // 00000000B4C8: 24080882
	v_add_u32_e32 v50, v50, v4                                 // 00000000B4CC: 68640932
	v_add_u32_e32 v51, v51, v4                                 // 00000000B4D0: 68660933
	v_add_u32_e32 v52, v52, v4                                 // 00000000B4D4: 68680934
	v_add_u32_e32 v53, v53, v4                                 // 00000000B4D8: 686A0935
	v_add_u32_e32 v54, v54, v4                                 // 00000000B4DC: 686C0936
	v_add_u32_e32 v55, v55, v4                                 // 00000000B4E0: 686E0937
	v_add_u32_e32 v56, v56, v4                                 // 00000000B4E4: 68700938
	v_add_u32_e32 v57, v57, v4                                 // 00000000B4E8: 68720939
	v_add_u32_e32 v58, v58, v4                                 // 00000000B4EC: 6874093A
	v_add_u32_e32 v59, v59, v4                                 // 00000000B4F0: 6876093B
	s_waitcnt lgkmcnt(0)                                       // 00000000B4F4: BF8CC07F
	s_barrier                                                  // 00000000B4F8: BF8A0000
	ds_read_b32 v64, v21                                       // 00000000B4FC: D86C0000 40000015
	ds_read_b32 v65, v21 offset:64                             // 00000000B504: D86C0040 41000015
	ds_read_b32 v68, v21 offset:2176                           // 00000000B50C: D86C0880 44000015
	ds_read_b32 v69, v21 offset:2240                           // 00000000B514: D86C08C0 45000015
	ds_read_b32 v72, v21 offset:4352                           // 00000000B51C: D86C1100 48000015
	ds_read_b32 v73, v21 offset:4416                           // 00000000B524: D86C1140 49000015
	ds_read_b32 v76, v21 offset:6528                           // 00000000B52C: D86C1980 4C000015
	ds_read_b32 v77, v21 offset:6592                           // 00000000B534: D86C19C0 4D000015
	ds_read_b32 v80, v21 offset:8704                           // 00000000B53C: D86C2200 50000015
	ds_read_b32 v81, v21 offset:8768                           // 00000000B544: D86C2240 51000015
	ds_read_b32 v84, v21 offset:10880                          // 00000000B54C: D86C2A80 54000015
	ds_read_b32 v85, v21 offset:10944                          // 00000000B554: D86C2AC0 55000015
	ds_read_b32 v88, v21 offset:13056                          // 00000000B55C: D86C3300 58000015
	ds_read_b32 v89, v21 offset:13120                          // 00000000B564: D86C3340 59000015
	ds_read_b32 v92, v21 offset:15232                          // 00000000B56C: D86C3B80 5C000015
	ds_read_b32 v93, v21 offset:15296                          // 00000000B574: D86C3BC0 5D000015
	ds_read_b32 v96, v21 offset:17408                          // 00000000B57C: D86C4400 60000015
	ds_read_b32 v97, v21 offset:17472                          // 00000000B584: D86C4440 61000015
	ds_read_b32 v100, v21 offset:19584                         // 00000000B58C: D86C4C80 64000015
	ds_read_b32 v101, v21 offset:19648                         // 00000000B594: D86C4CC0 65000015
	s_waitcnt lgkmcnt(0)                                       // 00000000B59C: BF8CC07F
	s_mov_b32 s36, -1                                          // 00000000B5A0: BEA400C1
	s_mov_b32 s37, -1                                          // 00000000B5A4: BEA500C1
	v_mov_b32_e32 v7, 0                                        // 00000000B5A8: 7E0E0280
	s_mov_b64 exec, s[36:37]                                   // 00000000B5AC: BEFE0124
	v_mov_b32_e32 v6, v50                                      // 00000000B5B0: 7E0C0332
	s_mov_b64 s[60:61], 0                                      // 00000000B5B4: BEBC0180
	v_readlane_b32 s82, v3, 0                                  // 00000000B5B8: D2890052 00010103
	s_and_b32 s82, s82, 0xffffff                               // 00000000B5C0: 8652FF52 00FFFFFF
	s_cmp_lt_u32 s82, s66                                      // 00000000B5C8: BF0A4252
	s_cselect_b32 s20, s36, s60                                // 00000000B5CC: 85143C24
	v_readlane_b32 s82, v3, 1                                  // 00000000B5D0: D2890052 00010303
	s_and_b32 s82, s82, 0xffffff                               // 00000000B5D8: 8652FF52 00FFFFFF
	s_cmp_lt_u32 s82, s66                                      // 00000000B5E0: BF0A4252
	s_cselect_b32 s21, s36, s60                                // 00000000B5E4: 85153C24
	s_mov_b64 exec, s[20:21]                                   // 00000000B5E8: BEFE0114
	global_atomic_add_f32 v6, v64, s[8:9]                      // 00000000B5EC: DD348000 00084006
	global_atomic_add_f32 v6, v68, s[8:9] offset:256           // 00000000B5F4: DD348100 00084406
	s_mov_b64 exec, s[36:37]                                   // 00000000B5FC: BEFE0124
	v_mov_b32_e32 v6, v51                                      // 00000000B600: 7E0C0333
	s_mov_b64 s[60:61], 0                                      // 00000000B604: BEBC0180
	v_readlane_b32 s82, v3, 2                                  // 00000000B608: D2890052 00010503
	s_and_b32 s82, s82, 0xffffff                               // 00000000B610: 8652FF52 00FFFFFF
	s_cmp_lt_u32 s82, s66                                      // 00000000B618: BF0A4252
	s_cselect_b32 s20, s36, s60                                // 00000000B61C: 85143C24
	v_readlane_b32 s82, v3, 3                                  // 00000000B620: D2890052 00010703
	s_and_b32 s82, s82, 0xffffff                               // 00000000B628: 8652FF52 00FFFFFF
	s_cmp_lt_u32 s82, s66                                      // 00000000B630: BF0A4252
	s_cselect_b32 s21, s36, s60                                // 00000000B634: 85153C24
	s_mov_b64 exec, s[20:21]                                   // 00000000B638: BEFE0114
	global_atomic_add_f32 v6, v65, s[8:9]                      // 00000000B63C: DD348000 00084106
	global_atomic_add_f32 v6, v69, s[8:9] offset:256           // 00000000B644: DD348100 00084506
	s_mov_b64 exec, s[36:37]                                   // 00000000B64C: BEFE0124
	v_mov_b32_e32 v6, v52                                      // 00000000B650: 7E0C0334
	s_mov_b64 s[60:61], 0                                      // 00000000B654: BEBC0180
	v_readlane_b32 s82, v3, 4                                  // 00000000B658: D2890052 00010903
	s_and_b32 s82, s82, 0xffffff                               // 00000000B660: 8652FF52 00FFFFFF
	s_cmp_lt_u32 s82, s66                                      // 00000000B668: BF0A4252
	s_cselect_b32 s20, s36, s60                                // 00000000B66C: 85143C24
	v_readlane_b32 s82, v3, 5                                  // 00000000B670: D2890052 00010B03
	s_and_b32 s82, s82, 0xffffff                               // 00000000B678: 8652FF52 00FFFFFF
	s_cmp_lt_u32 s82, s66                                      // 00000000B680: BF0A4252
	s_cselect_b32 s21, s36, s60                                // 00000000B684: 85153C24
	s_mov_b64 exec, s[20:21]                                   // 00000000B688: BEFE0114
	global_atomic_add_f32 v6, v72, s[8:9]                      // 00000000B68C: DD348000 00084806
	global_atomic_add_f32 v6, v76, s[8:9] offset:256           // 00000000B694: DD348100 00084C06
	s_mov_b64 exec, s[36:37]                                   // 00000000B69C: BEFE0124
	v_mov_b32_e32 v6, v53                                      // 00000000B6A0: 7E0C0335
	s_mov_b64 s[60:61], 0                                      // 00000000B6A4: BEBC0180
	v_readlane_b32 s82, v3, 6                                  // 00000000B6A8: D2890052 00010D03
	s_and_b32 s82, s82, 0xffffff                               // 00000000B6B0: 8652FF52 00FFFFFF
	s_cmp_lt_u32 s82, s66                                      // 00000000B6B8: BF0A4252
	s_cselect_b32 s20, s36, s60                                // 00000000B6BC: 85143C24
	v_readlane_b32 s82, v3, 7                                  // 00000000B6C0: D2890052 00010F03
	s_and_b32 s82, s82, 0xffffff                               // 00000000B6C8: 8652FF52 00FFFFFF
	s_cmp_lt_u32 s82, s66                                      // 00000000B6D0: BF0A4252
	s_cselect_b32 s21, s36, s60                                // 00000000B6D4: 85153C24
	s_mov_b64 exec, s[20:21]                                   // 00000000B6D8: BEFE0114
	global_atomic_add_f32 v6, v73, s[8:9]                      // 00000000B6DC: DD348000 00084906
	global_atomic_add_f32 v6, v77, s[8:9] offset:256           // 00000000B6E4: DD348100 00084D06
	s_mov_b64 exec, s[36:37]                                   // 00000000B6EC: BEFE0124
	v_mov_b32_e32 v6, v54                                      // 00000000B6F0: 7E0C0336
	s_mov_b64 s[60:61], 0                                      // 00000000B6F4: BEBC0180
	v_readlane_b32 s82, v3, 8                                  // 00000000B6F8: D2890052 00011103
	s_and_b32 s82, s82, 0xffffff                               // 00000000B700: 8652FF52 00FFFFFF
	s_cmp_lt_u32 s82, s66                                      // 00000000B708: BF0A4252
	s_cselect_b32 s20, s36, s60                                // 00000000B70C: 85143C24
	v_readlane_b32 s82, v3, 9                                  // 00000000B710: D2890052 00011303
	s_and_b32 s82, s82, 0xffffff                               // 00000000B718: 8652FF52 00FFFFFF
	s_cmp_lt_u32 s82, s66                                      // 00000000B720: BF0A4252
	s_cselect_b32 s21, s36, s60                                // 00000000B724: 85153C24
	s_mov_b64 exec, s[20:21]                                   // 00000000B728: BEFE0114
	global_atomic_add_f32 v6, v80, s[8:9]                      // 00000000B72C: DD348000 00085006
	global_atomic_add_f32 v6, v84, s[8:9] offset:256           // 00000000B734: DD348100 00085406
	s_mov_b64 exec, s[36:37]                                   // 00000000B73C: BEFE0124
	v_mov_b32_e32 v6, v55                                      // 00000000B740: 7E0C0337
	s_mov_b64 s[60:61], 0                                      // 00000000B744: BEBC0180
	v_readlane_b32 s82, v3, 10                                 // 00000000B748: D2890052 00011503
	s_and_b32 s82, s82, 0xffffff                               // 00000000B750: 8652FF52 00FFFFFF
	s_cmp_lt_u32 s82, s66                                      // 00000000B758: BF0A4252
	s_cselect_b32 s20, s36, s60                                // 00000000B75C: 85143C24
	v_readlane_b32 s82, v3, 11                                 // 00000000B760: D2890052 00011703
	s_and_b32 s82, s82, 0xffffff                               // 00000000B768: 8652FF52 00FFFFFF
	s_cmp_lt_u32 s82, s66                                      // 00000000B770: BF0A4252
	s_cselect_b32 s21, s36, s60                                // 00000000B774: 85153C24
	s_mov_b64 exec, s[20:21]                                   // 00000000B778: BEFE0114
	global_atomic_add_f32 v6, v81, s[8:9]                      // 00000000B77C: DD348000 00085106
	global_atomic_add_f32 v6, v85, s[8:9] offset:256           // 00000000B784: DD348100 00085506
	s_mov_b64 exec, s[36:37]                                   // 00000000B78C: BEFE0124
	v_mov_b32_e32 v6, v56                                      // 00000000B790: 7E0C0338
	s_mov_b64 s[60:61], 0                                      // 00000000B794: BEBC0180
	v_readlane_b32 s82, v3, 12                                 // 00000000B798: D2890052 00011903
	s_and_b32 s82, s82, 0xffffff                               // 00000000B7A0: 8652FF52 00FFFFFF
	s_cmp_lt_u32 s82, s66                                      // 00000000B7A8: BF0A4252
	s_cselect_b32 s20, s36, s60                                // 00000000B7AC: 85143C24
	v_readlane_b32 s82, v3, 13                                 // 00000000B7B0: D2890052 00011B03
	s_and_b32 s82, s82, 0xffffff                               // 00000000B7B8: 8652FF52 00FFFFFF
	s_cmp_lt_u32 s82, s66                                      // 00000000B7C0: BF0A4252
	s_cselect_b32 s21, s36, s60                                // 00000000B7C4: 85153C24
	s_mov_b64 exec, s[20:21]                                   // 00000000B7C8: BEFE0114
	global_atomic_add_f32 v6, v88, s[8:9]                      // 00000000B7CC: DD348000 00085806
	global_atomic_add_f32 v6, v92, s[8:9] offset:256           // 00000000B7D4: DD348100 00085C06
	s_mov_b64 exec, s[36:37]                                   // 00000000B7DC: BEFE0124
	v_mov_b32_e32 v6, v57                                      // 00000000B7E0: 7E0C0339
	s_mov_b64 s[60:61], 0                                      // 00000000B7E4: BEBC0180
	v_readlane_b32 s82, v3, 14                                 // 00000000B7E8: D2890052 00011D03
	s_and_b32 s82, s82, 0xffffff                               // 00000000B7F0: 8652FF52 00FFFFFF
	s_cmp_lt_u32 s82, s66                                      // 00000000B7F8: BF0A4252
	s_cselect_b32 s20, s36, s60                                // 00000000B7FC: 85143C24
	v_readlane_b32 s82, v3, 15                                 // 00000000B800: D2890052 00011F03
	s_and_b32 s82, s82, 0xffffff                               // 00000000B808: 8652FF52 00FFFFFF
	s_cmp_lt_u32 s82, s66                                      // 00000000B810: BF0A4252
	s_cselect_b32 s21, s36, s60                                // 00000000B814: 85153C24
	s_mov_b64 exec, s[20:21]                                   // 00000000B818: BEFE0114
	global_atomic_add_f32 v6, v89, s[8:9]                      // 00000000B81C: DD348000 00085906
	global_atomic_add_f32 v6, v93, s[8:9] offset:256           // 00000000B824: DD348100 00085D06
	s_mov_b64 exec, s[36:37]                                   // 00000000B82C: BEFE0124
	v_mov_b32_e32 v6, v58                                      // 00000000B830: 7E0C033A
	s_mov_b64 s[60:61], 0                                      // 00000000B834: BEBC0180
	v_readlane_b32 s82, v3, 16                                 // 00000000B838: D2890052 00012103
	s_and_b32 s82, s82, 0xffffff                               // 00000000B840: 8652FF52 00FFFFFF
	s_cmp_lt_u32 s82, s66                                      // 00000000B848: BF0A4252
	s_cselect_b32 s20, s36, s60                                // 00000000B84C: 85143C24
	v_readlane_b32 s82, v3, 17                                 // 00000000B850: D2890052 00012303
	s_and_b32 s82, s82, 0xffffff                               // 00000000B858: 8652FF52 00FFFFFF
	s_cmp_lt_u32 s82, s66                                      // 00000000B860: BF0A4252
	s_cselect_b32 s21, s36, s60                                // 00000000B864: 85153C24
	s_mov_b64 exec, s[20:21]                                   // 00000000B868: BEFE0114
	global_atomic_add_f32 v6, v96, s[8:9]                      // 00000000B86C: DD348000 00086006
	global_atomic_add_f32 v6, v100, s[8:9] offset:256          // 00000000B874: DD348100 00086406
	s_mov_b64 exec, s[36:37]                                   // 00000000B87C: BEFE0124
	v_mov_b32_e32 v6, v59                                      // 00000000B880: 7E0C033B
	s_mov_b64 s[60:61], 0                                      // 00000000B884: BEBC0180
	v_readlane_b32 s82, v3, 18                                 // 00000000B888: D2890052 00012503
	s_and_b32 s82, s82, 0xffffff                               // 00000000B890: 8652FF52 00FFFFFF
	s_cmp_lt_u32 s82, s66                                      // 00000000B898: BF0A4252
	s_cselect_b32 s20, s36, s60                                // 00000000B89C: 85143C24
	v_readlane_b32 s82, v3, 19                                 // 00000000B8A0: D2890052 00012703
	s_and_b32 s82, s82, 0xffffff                               // 00000000B8A8: 8652FF52 00FFFFFF
	s_cmp_lt_u32 s82, s66                                      // 00000000B8B0: BF0A4252
	s_cselect_b32 s21, s36, s60                                // 00000000B8B4: 85153C24
	s_mov_b64 exec, s[20:21]                                   // 00000000B8B8: BEFE0114
	global_atomic_add_f32 v6, v97, s[8:9]                      // 00000000B8BC: DD348000 00086106
	global_atomic_add_f32 v6, v101, s[8:9] offset:256          // 00000000B8C4: DD348100 00086506
	s_mov_b64 exec, s[36:37]                                   // 00000000B8CC: BEFE0124
	ds_write_b64 v20, v[66:67]                                 // 00000000B8D0: D89A0000 00004214
	ds_write_b64 v20, v[70:71] offset:4352                     // 00000000B8D8: D89A1100 00004614
	ds_write_b64 v20, v[74:75] offset:8704                     // 00000000B8E0: D89A2200 00004A14
	ds_write_b64 v20, v[78:79] offset:13056                    // 00000000B8E8: D89A3300 00004E14
	ds_write_b64 v20, v[82:83] offset:17408                    // 00000000B8F0: D89A4400 00005214
	ds_write_b64 v20, v[86:87] offset:2176                     // 00000000B8F8: D89A0880 00005614
	ds_write_b64 v20, v[90:91] offset:6528                     // 00000000B900: D89A1980 00005A14
	ds_write_b64 v20, v[94:95] offset:10880                    // 00000000B908: D89A2A80 00005E14
	ds_write_b64 v20, v[98:99] offset:15232                    // 00000000B910: D89A3B80 00006214
	ds_write_b64 v20, v[102:103] offset:19584                  // 00000000B918: D89A4C80 00006614
	s_waitcnt lgkmcnt(0)                                       // 00000000B920: BF8CC07F
	s_barrier                                                  // 00000000B924: BF8A0000
	ds_read_b32 v66, v21                                       // 00000000B928: D86C0000 42000015
	ds_read_b32 v67, v21 offset:64                             // 00000000B930: D86C0040 43000015
	ds_read_b32 v70, v21 offset:2176                           // 00000000B938: D86C0880 46000015
	ds_read_b32 v71, v21 offset:2240                           // 00000000B940: D86C08C0 47000015
	ds_read_b32 v74, v21 offset:4352                           // 00000000B948: D86C1100 4A000015
	ds_read_b32 v75, v21 offset:4416                           // 00000000B950: D86C1140 4B000015
	ds_read_b32 v78, v21 offset:6528                           // 00000000B958: D86C1980 4E000015
	ds_read_b32 v79, v21 offset:6592                           // 00000000B960: D86C19C0 4F000015
	ds_read_b32 v82, v21 offset:8704                           // 00000000B968: D86C2200 52000015
	ds_read_b32 v83, v21 offset:8768                           // 00000000B970: D86C2240 53000015
	ds_read_b32 v86, v21 offset:10880                          // 00000000B978: D86C2A80 56000015
	ds_read_b32 v87, v21 offset:10944                          // 00000000B980: D86C2AC0 57000015
	ds_read_b32 v90, v21 offset:13056                          // 00000000B988: D86C3300 5A000015
	ds_read_b32 v91, v21 offset:13120                          // 00000000B990: D86C3340 5B000015
	ds_read_b32 v94, v21 offset:15232                          // 00000000B998: D86C3B80 5E000015
	ds_read_b32 v95, v21 offset:15296                          // 00000000B9A0: D86C3BC0 5F000015
	ds_read_b32 v98, v21 offset:17408                          // 00000000B9A8: D86C4400 62000015
	ds_read_b32 v99, v21 offset:17472                          // 00000000B9B0: D86C4440 63000015
	ds_read_b32 v102, v21 offset:19584                         // 00000000B9B8: D86C4C80 66000015
	ds_read_b32 v103, v21 offset:19648                         // 00000000B9C0: D86C4CC0 67000015
	s_waitcnt lgkmcnt(0)                                       // 00000000B9C8: BF8CC07F
	v_mov_b32_e32 v7, 0                                        // 00000000B9CC: 7E0E0280
	s_mov_b64 exec, s[36:37]                                   // 00000000B9D0: BEFE0124
	v_mov_b32_e32 v6, v50                                      // 00000000B9D4: 7E0C0332
	s_mov_b64 s[60:61], 0                                      // 00000000B9D8: BEBC0180
	v_readlane_b32 s82, v3, 0                                  // 00000000B9DC: D2890052 00010103
	s_and_b32 s82, s82, 0xffffff                               // 00000000B9E4: 8652FF52 00FFFFFF
	s_cmp_lt_u32 s82, s66                                      // 00000000B9EC: BF0A4252
	s_cselect_b32 s20, s36, s60                                // 00000000B9F0: 85143C24
	v_readlane_b32 s82, v3, 1                                  // 00000000B9F4: D2890052 00010303
	s_and_b32 s82, s82, 0xffffff                               // 00000000B9FC: 8652FF52 00FFFFFF
	s_cmp_lt_u32 s82, s66                                      // 00000000BA04: BF0A4252
	s_cselect_b32 s21, s36, s60                                // 00000000BA08: 85153C24
	s_mov_b64 exec, s[20:21]                                   // 00000000BA0C: BEFE0114
	global_atomic_add_f32 v6, v66, s[8:9] offset:8             // 00000000BA10: DD348008 00084206
	global_atomic_add_f32 v6, v70, s[8:9] offset:264           // 00000000BA18: DD348108 00084606
	s_mov_b64 exec, s[36:37]                                   // 00000000BA20: BEFE0124
	v_mov_b32_e32 v6, v51                                      // 00000000BA24: 7E0C0333
	s_mov_b64 s[60:61], 0                                      // 00000000BA28: BEBC0180
	v_readlane_b32 s82, v3, 2                                  // 00000000BA2C: D2890052 00010503
	s_and_b32 s82, s82, 0xffffff                               // 00000000BA34: 8652FF52 00FFFFFF
	s_cmp_lt_u32 s82, s66                                      // 00000000BA3C: BF0A4252
	s_cselect_b32 s20, s36, s60                                // 00000000BA40: 85143C24
	v_readlane_b32 s82, v3, 3                                  // 00000000BA44: D2890052 00010703
	s_and_b32 s82, s82, 0xffffff                               // 00000000BA4C: 8652FF52 00FFFFFF
	s_cmp_lt_u32 s82, s66                                      // 00000000BA54: BF0A4252
	s_cselect_b32 s21, s36, s60                                // 00000000BA58: 85153C24
	s_mov_b64 exec, s[20:21]                                   // 00000000BA5C: BEFE0114
	global_atomic_add_f32 v6, v67, s[8:9] offset:8             // 00000000BA60: DD348008 00084306
	global_atomic_add_f32 v6, v71, s[8:9] offset:264           // 00000000BA68: DD348108 00084706
	s_mov_b64 exec, s[36:37]                                   // 00000000BA70: BEFE0124
	v_mov_b32_e32 v6, v52                                      // 00000000BA74: 7E0C0334
	s_mov_b64 s[60:61], 0                                      // 00000000BA78: BEBC0180
	v_readlane_b32 s82, v3, 4                                  // 00000000BA7C: D2890052 00010903
	s_and_b32 s82, s82, 0xffffff                               // 00000000BA84: 8652FF52 00FFFFFF
	s_cmp_lt_u32 s82, s66                                      // 00000000BA8C: BF0A4252
	s_cselect_b32 s20, s36, s60                                // 00000000BA90: 85143C24
	v_readlane_b32 s82, v3, 5                                  // 00000000BA94: D2890052 00010B03
	s_and_b32 s82, s82, 0xffffff                               // 00000000BA9C: 8652FF52 00FFFFFF
	s_cmp_lt_u32 s82, s66                                      // 00000000BAA4: BF0A4252
	s_cselect_b32 s21, s36, s60                                // 00000000BAA8: 85153C24
	s_mov_b64 exec, s[20:21]                                   // 00000000BAAC: BEFE0114
	global_atomic_add_f32 v6, v74, s[8:9] offset:8             // 00000000BAB0: DD348008 00084A06
	global_atomic_add_f32 v6, v78, s[8:9] offset:264           // 00000000BAB8: DD348108 00084E06
	s_mov_b64 exec, s[36:37]                                   // 00000000BAC0: BEFE0124
	v_mov_b32_e32 v6, v53                                      // 00000000BAC4: 7E0C0335
	s_mov_b64 s[60:61], 0                                      // 00000000BAC8: BEBC0180
	v_readlane_b32 s82, v3, 6                                  // 00000000BACC: D2890052 00010D03
	s_and_b32 s82, s82, 0xffffff                               // 00000000BAD4: 8652FF52 00FFFFFF
	s_cmp_lt_u32 s82, s66                                      // 00000000BADC: BF0A4252
	s_cselect_b32 s20, s36, s60                                // 00000000BAE0: 85143C24
	v_readlane_b32 s82, v3, 7                                  // 00000000BAE4: D2890052 00010F03
	s_and_b32 s82, s82, 0xffffff                               // 00000000BAEC: 8652FF52 00FFFFFF
	s_cmp_lt_u32 s82, s66                                      // 00000000BAF4: BF0A4252
	s_cselect_b32 s21, s36, s60                                // 00000000BAF8: 85153C24
	s_mov_b64 exec, s[20:21]                                   // 00000000BAFC: BEFE0114
	global_atomic_add_f32 v6, v75, s[8:9] offset:8             // 00000000BB00: DD348008 00084B06
	global_atomic_add_f32 v6, v79, s[8:9] offset:264           // 00000000BB08: DD348108 00084F06
	s_mov_b64 exec, s[36:37]                                   // 00000000BB10: BEFE0124
	v_mov_b32_e32 v6, v54                                      // 00000000BB14: 7E0C0336
	s_mov_b64 s[60:61], 0                                      // 00000000BB18: BEBC0180
	v_readlane_b32 s82, v3, 8                                  // 00000000BB1C: D2890052 00011103
	s_and_b32 s82, s82, 0xffffff                               // 00000000BB24: 8652FF52 00FFFFFF
	s_cmp_lt_u32 s82, s66                                      // 00000000BB2C: BF0A4252
	s_cselect_b32 s20, s36, s60                                // 00000000BB30: 85143C24
	v_readlane_b32 s82, v3, 9                                  // 00000000BB34: D2890052 00011303
	s_and_b32 s82, s82, 0xffffff                               // 00000000BB3C: 8652FF52 00FFFFFF
	s_cmp_lt_u32 s82, s66                                      // 00000000BB44: BF0A4252
	s_cselect_b32 s21, s36, s60                                // 00000000BB48: 85153C24
	s_mov_b64 exec, s[20:21]                                   // 00000000BB4C: BEFE0114
	global_atomic_add_f32 v6, v82, s[8:9] offset:8             // 00000000BB50: DD348008 00085206
	global_atomic_add_f32 v6, v86, s[8:9] offset:264           // 00000000BB58: DD348108 00085606
	s_mov_b64 exec, s[36:37]                                   // 00000000BB60: BEFE0124
	v_mov_b32_e32 v6, v55                                      // 00000000BB64: 7E0C0337
	s_mov_b64 s[60:61], 0                                      // 00000000BB68: BEBC0180
	v_readlane_b32 s82, v3, 10                                 // 00000000BB6C: D2890052 00011503
	s_and_b32 s82, s82, 0xffffff                               // 00000000BB74: 8652FF52 00FFFFFF
	s_cmp_lt_u32 s82, s66                                      // 00000000BB7C: BF0A4252
	s_cselect_b32 s20, s36, s60                                // 00000000BB80: 85143C24
	v_readlane_b32 s82, v3, 11                                 // 00000000BB84: D2890052 00011703
	s_and_b32 s82, s82, 0xffffff                               // 00000000BB8C: 8652FF52 00FFFFFF
	s_cmp_lt_u32 s82, s66                                      // 00000000BB94: BF0A4252
	s_cselect_b32 s21, s36, s60                                // 00000000BB98: 85153C24
	s_mov_b64 exec, s[20:21]                                   // 00000000BB9C: BEFE0114
	global_atomic_add_f32 v6, v83, s[8:9] offset:8             // 00000000BBA0: DD348008 00085306
	global_atomic_add_f32 v6, v87, s[8:9] offset:264           // 00000000BBA8: DD348108 00085706
	s_mov_b64 exec, s[36:37]                                   // 00000000BBB0: BEFE0124
	v_mov_b32_e32 v6, v56                                      // 00000000BBB4: 7E0C0338
	s_mov_b64 s[60:61], 0                                      // 00000000BBB8: BEBC0180
	v_readlane_b32 s82, v3, 12                                 // 00000000BBBC: D2890052 00011903
	s_and_b32 s82, s82, 0xffffff                               // 00000000BBC4: 8652FF52 00FFFFFF
	s_cmp_lt_u32 s82, s66                                      // 00000000BBCC: BF0A4252
	s_cselect_b32 s20, s36, s60                                // 00000000BBD0: 85143C24
	v_readlane_b32 s82, v3, 13                                 // 00000000BBD4: D2890052 00011B03
	s_and_b32 s82, s82, 0xffffff                               // 00000000BBDC: 8652FF52 00FFFFFF
	s_cmp_lt_u32 s82, s66                                      // 00000000BBE4: BF0A4252
	s_cselect_b32 s21, s36, s60                                // 00000000BBE8: 85153C24
	s_mov_b64 exec, s[20:21]                                   // 00000000BBEC: BEFE0114
	global_atomic_add_f32 v6, v90, s[8:9] offset:8             // 00000000BBF0: DD348008 00085A06
	global_atomic_add_f32 v6, v94, s[8:9] offset:264           // 00000000BBF8: DD348108 00085E06
	s_mov_b64 exec, s[36:37]                                   // 00000000BC00: BEFE0124
	v_mov_b32_e32 v6, v57                                      // 00000000BC04: 7E0C0339
	s_mov_b64 s[60:61], 0                                      // 00000000BC08: BEBC0180
	v_readlane_b32 s82, v3, 14                                 // 00000000BC0C: D2890052 00011D03
	s_and_b32 s82, s82, 0xffffff                               // 00000000BC14: 8652FF52 00FFFFFF
	s_cmp_lt_u32 s82, s66                                      // 00000000BC1C: BF0A4252
	s_cselect_b32 s20, s36, s60                                // 00000000BC20: 85143C24
	v_readlane_b32 s82, v3, 15                                 // 00000000BC24: D2890052 00011F03
	s_and_b32 s82, s82, 0xffffff                               // 00000000BC2C: 8652FF52 00FFFFFF
	s_cmp_lt_u32 s82, s66                                      // 00000000BC34: BF0A4252
	s_cselect_b32 s21, s36, s60                                // 00000000BC38: 85153C24
	s_mov_b64 exec, s[20:21]                                   // 00000000BC3C: BEFE0114
	global_atomic_add_f32 v6, v91, s[8:9] offset:8             // 00000000BC40: DD348008 00085B06
	global_atomic_add_f32 v6, v95, s[8:9] offset:264           // 00000000BC48: DD348108 00085F06
	s_mov_b64 exec, s[36:37]                                   // 00000000BC50: BEFE0124
	v_mov_b32_e32 v6, v58                                      // 00000000BC54: 7E0C033A
	s_mov_b64 s[60:61], 0                                      // 00000000BC58: BEBC0180
	v_readlane_b32 s82, v3, 16                                 // 00000000BC5C: D2890052 00012103
	s_and_b32 s82, s82, 0xffffff                               // 00000000BC64: 8652FF52 00FFFFFF
	s_cmp_lt_u32 s82, s66                                      // 00000000BC6C: BF0A4252
	s_cselect_b32 s20, s36, s60                                // 00000000BC70: 85143C24
	v_readlane_b32 s82, v3, 17                                 // 00000000BC74: D2890052 00012303
	s_and_b32 s82, s82, 0xffffff                               // 00000000BC7C: 8652FF52 00FFFFFF
	s_cmp_lt_u32 s82, s66                                      // 00000000BC84: BF0A4252
	s_cselect_b32 s21, s36, s60                                // 00000000BC88: 85153C24
	s_mov_b64 exec, s[20:21]                                   // 00000000BC8C: BEFE0114
	global_atomic_add_f32 v6, v98, s[8:9] offset:8             // 00000000BC90: DD348008 00086206
	global_atomic_add_f32 v6, v102, s[8:9] offset:264          // 00000000BC98: DD348108 00086606
	s_mov_b64 exec, s[36:37]                                   // 00000000BCA0: BEFE0124
	v_mov_b32_e32 v6, v59                                      // 00000000BCA4: 7E0C033B
	s_mov_b64 s[60:61], 0                                      // 00000000BCA8: BEBC0180
	v_readlane_b32 s82, v3, 18                                 // 00000000BCAC: D2890052 00012503
	s_and_b32 s82, s82, 0xffffff                               // 00000000BCB4: 8652FF52 00FFFFFF
	s_cmp_lt_u32 s82, s66                                      // 00000000BCBC: BF0A4252
	s_cselect_b32 s20, s36, s60                                // 00000000BCC0: 85143C24
	v_readlane_b32 s82, v3, 19                                 // 00000000BCC4: D2890052 00012703
	s_and_b32 s82, s82, 0xffffff                               // 00000000BCCC: 8652FF52 00FFFFFF
	s_cmp_lt_u32 s82, s66                                      // 00000000BCD4: BF0A4252
	s_cselect_b32 s21, s36, s60                                // 00000000BCD8: 85153C24
	s_mov_b64 exec, s[20:21]                                   // 00000000BCDC: BEFE0114
	global_atomic_add_f32 v6, v99, s[8:9] offset:8             // 00000000BCE0: DD348008 00086306
	global_atomic_add_f32 v6, v103, s[8:9] offset:264          // 00000000BCE8: DD348108 00086706
	s_mov_b64 exec, s[36:37]                                   // 00000000BCF0: BEFE0124
	ds_write_b64 v20, v[104:105]                               // 00000000BCF4: D89A0000 00006814
	ds_write_b64 v20, v[108:109] offset:4352                   // 00000000BCFC: D89A1100 00006C14
	ds_write_b64 v20, v[112:113] offset:8704                   // 00000000BD04: D89A2200 00007014
	ds_write_b64 v20, v[116:117] offset:13056                  // 00000000BD0C: D89A3300 00007414
	ds_write_b64 v20, v[120:121] offset:17408                  // 00000000BD14: D89A4400 00007814
	ds_write_b64 v20, v[124:125] offset:2176                   // 00000000BD1C: D89A0880 00007C14
	ds_write_b64 v20, v[128:129] offset:6528                   // 00000000BD24: D89A1980 00008014
	ds_write_b64 v20, v[132:133] offset:10880                  // 00000000BD2C: D89A2A80 00008414
	ds_write_b64 v20, v[136:137] offset:15232                  // 00000000BD34: D89A3B80 00008814
	ds_write_b64 v20, v[140:141] offset:19584                  // 00000000BD3C: D89A4C80 00008C14
	s_waitcnt lgkmcnt(0)                                       // 00000000BD44: BF8CC07F
	s_barrier                                                  // 00000000BD48: BF8A0000
	ds_read_b32 v104, v21                                      // 00000000BD4C: D86C0000 68000015
	ds_read_b32 v105, v21 offset:64                            // 00000000BD54: D86C0040 69000015
	ds_read_b32 v108, v21 offset:2176                          // 00000000BD5C: D86C0880 6C000015
	ds_read_b32 v109, v21 offset:2240                          // 00000000BD64: D86C08C0 6D000015
	ds_read_b32 v112, v21 offset:4352                          // 00000000BD6C: D86C1100 70000015
	ds_read_b32 v113, v21 offset:4416                          // 00000000BD74: D86C1140 71000015
	ds_read_b32 v116, v21 offset:6528                          // 00000000BD7C: D86C1980 74000015
	ds_read_b32 v117, v21 offset:6592                          // 00000000BD84: D86C19C0 75000015
	ds_read_b32 v120, v21 offset:8704                          // 00000000BD8C: D86C2200 78000015
	ds_read_b32 v121, v21 offset:8768                          // 00000000BD94: D86C2240 79000015
	ds_read_b32 v124, v21 offset:10880                         // 00000000BD9C: D86C2A80 7C000015
	ds_read_b32 v125, v21 offset:10944                         // 00000000BDA4: D86C2AC0 7D000015
	ds_read_b32 v128, v21 offset:13056                         // 00000000BDAC: D86C3300 80000015
	ds_read_b32 v129, v21 offset:13120                         // 00000000BDB4: D86C3340 81000015
	ds_read_b32 v132, v21 offset:15232                         // 00000000BDBC: D86C3B80 84000015
	ds_read_b32 v133, v21 offset:15296                         // 00000000BDC4: D86C3BC0 85000015
	ds_read_b32 v136, v21 offset:17408                         // 00000000BDCC: D86C4400 88000015
	ds_read_b32 v137, v21 offset:17472                         // 00000000BDD4: D86C4440 89000015
	ds_read_b32 v140, v21 offset:19584                         // 00000000BDDC: D86C4C80 8C000015
	ds_read_b32 v141, v21 offset:19648                         // 00000000BDE4: D86C4CC0 8D000015
	s_mul_i32 s60, s65, 4                                      // 00000000BDEC: 923C8441
	s_add_u32 s8, s60, s8                                      // 00000000BDF0: 8008083C
	s_addc_u32 s9, 0, s9                                       // 00000000BDF4: 82090980
	s_waitcnt lgkmcnt(0)                                       // 00000000BDF8: BF8CC07F
	v_mov_b32_e32 v7, 0                                        // 00000000BDFC: 7E0E0280
	s_mov_b64 exec, s[36:37]                                   // 00000000BE00: BEFE0124
	v_mov_b32_e32 v6, v50                                      // 00000000BE04: 7E0C0332
	s_mov_b64 s[60:61], 0                                      // 00000000BE08: BEBC0180
	v_readlane_b32 s82, v3, 0                                  // 00000000BE0C: D2890052 00010103
	s_and_b32 s82, s82, 0xffffff                               // 00000000BE14: 8652FF52 00FFFFFF
	s_cmp_lt_u32 s82, s66                                      // 00000000BE1C: BF0A4252
	s_cselect_b32 s20, s36, s60                                // 00000000BE20: 85143C24
	v_readlane_b32 s82, v3, 1                                  // 00000000BE24: D2890052 00010303
	s_and_b32 s82, s82, 0xffffff                               // 00000000BE2C: 8652FF52 00FFFFFF
	s_cmp_lt_u32 s82, s66                                      // 00000000BE34: BF0A4252
	s_cselect_b32 s21, s36, s60                                // 00000000BE38: 85153C24
	s_mov_b64 exec, s[20:21]                                   // 00000000BE3C: BEFE0114
	global_atomic_add_f32 v6, v104, s[8:9]                     // 00000000BE40: DD348000 00086806
	global_atomic_add_f32 v6, v108, s[8:9] offset:256          // 00000000BE48: DD348100 00086C06
	s_mov_b64 exec, s[36:37]                                   // 00000000BE50: BEFE0124
	v_mov_b32_e32 v6, v51                                      // 00000000BE54: 7E0C0333
	s_mov_b64 s[60:61], 0                                      // 00000000BE58: BEBC0180
	v_readlane_b32 s82, v3, 2                                  // 00000000BE5C: D2890052 00010503
	s_and_b32 s82, s82, 0xffffff                               // 00000000BE64: 8652FF52 00FFFFFF
	s_cmp_lt_u32 s82, s66                                      // 00000000BE6C: BF0A4252
	s_cselect_b32 s20, s36, s60                                // 00000000BE70: 85143C24
	v_readlane_b32 s82, v3, 3                                  // 00000000BE74: D2890052 00010703
	s_and_b32 s82, s82, 0xffffff                               // 00000000BE7C: 8652FF52 00FFFFFF
	s_cmp_lt_u32 s82, s66                                      // 00000000BE84: BF0A4252
	s_cselect_b32 s21, s36, s60                                // 00000000BE88: 85153C24
	s_mov_b64 exec, s[20:21]                                   // 00000000BE8C: BEFE0114
	global_atomic_add_f32 v6, v105, s[8:9]                     // 00000000BE90: DD348000 00086906
	global_atomic_add_f32 v6, v109, s[8:9] offset:256          // 00000000BE98: DD348100 00086D06
	s_mov_b64 exec, s[36:37]                                   // 00000000BEA0: BEFE0124
	v_mov_b32_e32 v6, v52                                      // 00000000BEA4: 7E0C0334
	s_mov_b64 s[60:61], 0                                      // 00000000BEA8: BEBC0180
	v_readlane_b32 s82, v3, 4                                  // 00000000BEAC: D2890052 00010903
	s_and_b32 s82, s82, 0xffffff                               // 00000000BEB4: 8652FF52 00FFFFFF
	s_cmp_lt_u32 s82, s66                                      // 00000000BEBC: BF0A4252
	s_cselect_b32 s20, s36, s60                                // 00000000BEC0: 85143C24
	v_readlane_b32 s82, v3, 5                                  // 00000000BEC4: D2890052 00010B03
	s_and_b32 s82, s82, 0xffffff                               // 00000000BECC: 8652FF52 00FFFFFF
	s_cmp_lt_u32 s82, s66                                      // 00000000BED4: BF0A4252
	s_cselect_b32 s21, s36, s60                                // 00000000BED8: 85153C24
	s_mov_b64 exec, s[20:21]                                   // 00000000BEDC: BEFE0114
	global_atomic_add_f32 v6, v112, s[8:9]                     // 00000000BEE0: DD348000 00087006
	global_atomic_add_f32 v6, v116, s[8:9] offset:256          // 00000000BEE8: DD348100 00087406
	s_mov_b64 exec, s[36:37]                                   // 00000000BEF0: BEFE0124
	v_mov_b32_e32 v6, v53                                      // 00000000BEF4: 7E0C0335
	s_mov_b64 s[60:61], 0                                      // 00000000BEF8: BEBC0180
	v_readlane_b32 s82, v3, 6                                  // 00000000BEFC: D2890052 00010D03
	s_and_b32 s82, s82, 0xffffff                               // 00000000BF04: 8652FF52 00FFFFFF
	s_cmp_lt_u32 s82, s66                                      // 00000000BF0C: BF0A4252
	s_cselect_b32 s20, s36, s60                                // 00000000BF10: 85143C24
	v_readlane_b32 s82, v3, 7                                  // 00000000BF14: D2890052 00010F03
	s_and_b32 s82, s82, 0xffffff                               // 00000000BF1C: 8652FF52 00FFFFFF
	s_cmp_lt_u32 s82, s66                                      // 00000000BF24: BF0A4252
	s_cselect_b32 s21, s36, s60                                // 00000000BF28: 85153C24
	s_mov_b64 exec, s[20:21]                                   // 00000000BF2C: BEFE0114
	global_atomic_add_f32 v6, v113, s[8:9]                     // 00000000BF30: DD348000 00087106
	global_atomic_add_f32 v6, v117, s[8:9] offset:256          // 00000000BF38: DD348100 00087506
	s_mov_b64 exec, s[36:37]                                   // 00000000BF40: BEFE0124
	v_mov_b32_e32 v6, v54                                      // 00000000BF44: 7E0C0336
	s_mov_b64 s[60:61], 0                                      // 00000000BF48: BEBC0180
	v_readlane_b32 s82, v3, 8                                  // 00000000BF4C: D2890052 00011103
	s_and_b32 s82, s82, 0xffffff                               // 00000000BF54: 8652FF52 00FFFFFF
	s_cmp_lt_u32 s82, s66                                      // 00000000BF5C: BF0A4252
	s_cselect_b32 s20, s36, s60                                // 00000000BF60: 85143C24
	v_readlane_b32 s82, v3, 9                                  // 00000000BF64: D2890052 00011303
	s_and_b32 s82, s82, 0xffffff                               // 00000000BF6C: 8652FF52 00FFFFFF
	s_cmp_lt_u32 s82, s66                                      // 00000000BF74: BF0A4252
	s_cselect_b32 s21, s36, s60                                // 00000000BF78: 85153C24
	s_mov_b64 exec, s[20:21]                                   // 00000000BF7C: BEFE0114
	global_atomic_add_f32 v6, v120, s[8:9]                     // 00000000BF80: DD348000 00087806
	global_atomic_add_f32 v6, v124, s[8:9] offset:256          // 00000000BF88: DD348100 00087C06
	s_mov_b64 exec, s[36:37]                                   // 00000000BF90: BEFE0124
	v_mov_b32_e32 v6, v55                                      // 00000000BF94: 7E0C0337
	s_mov_b64 s[60:61], 0                                      // 00000000BF98: BEBC0180
	v_readlane_b32 s82, v3, 10                                 // 00000000BF9C: D2890052 00011503
	s_and_b32 s82, s82, 0xffffff                               // 00000000BFA4: 8652FF52 00FFFFFF
	s_cmp_lt_u32 s82, s66                                      // 00000000BFAC: BF0A4252
	s_cselect_b32 s20, s36, s60                                // 00000000BFB0: 85143C24
	v_readlane_b32 s82, v3, 11                                 // 00000000BFB4: D2890052 00011703
	s_and_b32 s82, s82, 0xffffff                               // 00000000BFBC: 8652FF52 00FFFFFF
	s_cmp_lt_u32 s82, s66                                      // 00000000BFC4: BF0A4252
	s_cselect_b32 s21, s36, s60                                // 00000000BFC8: 85153C24
	s_mov_b64 exec, s[20:21]                                   // 00000000BFCC: BEFE0114
	global_atomic_add_f32 v6, v121, s[8:9]                     // 00000000BFD0: DD348000 00087906
	global_atomic_add_f32 v6, v125, s[8:9] offset:256          // 00000000BFD8: DD348100 00087D06
	s_mov_b64 exec, s[36:37]                                   // 00000000BFE0: BEFE0124
	v_mov_b32_e32 v6, v56                                      // 00000000BFE4: 7E0C0338
	s_mov_b64 s[60:61], 0                                      // 00000000BFE8: BEBC0180
	v_readlane_b32 s82, v3, 12                                 // 00000000BFEC: D2890052 00011903
	s_and_b32 s82, s82, 0xffffff                               // 00000000BFF4: 8652FF52 00FFFFFF
	s_cmp_lt_u32 s82, s66                                      // 00000000BFFC: BF0A4252
	s_cselect_b32 s20, s36, s60                                // 00000000C000: 85143C24
	v_readlane_b32 s82, v3, 13                                 // 00000000C004: D2890052 00011B03
	s_and_b32 s82, s82, 0xffffff                               // 00000000C00C: 8652FF52 00FFFFFF
	s_cmp_lt_u32 s82, s66                                      // 00000000C014: BF0A4252
	s_cselect_b32 s21, s36, s60                                // 00000000C018: 85153C24
	s_mov_b64 exec, s[20:21]                                   // 00000000C01C: BEFE0114
	global_atomic_add_f32 v6, v128, s[8:9]                     // 00000000C020: DD348000 00088006
	global_atomic_add_f32 v6, v132, s[8:9] offset:256          // 00000000C028: DD348100 00088406
	s_mov_b64 exec, s[36:37]                                   // 00000000C030: BEFE0124
	v_mov_b32_e32 v6, v57                                      // 00000000C034: 7E0C0339
	s_mov_b64 s[60:61], 0                                      // 00000000C038: BEBC0180
	v_readlane_b32 s82, v3, 14                                 // 00000000C03C: D2890052 00011D03
	s_and_b32 s82, s82, 0xffffff                               // 00000000C044: 8652FF52 00FFFFFF
	s_cmp_lt_u32 s82, s66                                      // 00000000C04C: BF0A4252
	s_cselect_b32 s20, s36, s60                                // 00000000C050: 85143C24
	v_readlane_b32 s82, v3, 15                                 // 00000000C054: D2890052 00011F03
	s_and_b32 s82, s82, 0xffffff                               // 00000000C05C: 8652FF52 00FFFFFF
	s_cmp_lt_u32 s82, s66                                      // 00000000C064: BF0A4252
	s_cselect_b32 s21, s36, s60                                // 00000000C068: 85153C24
	s_mov_b64 exec, s[20:21]                                   // 00000000C06C: BEFE0114
	global_atomic_add_f32 v6, v129, s[8:9]                     // 00000000C070: DD348000 00088106
	global_atomic_add_f32 v6, v133, s[8:9] offset:256          // 00000000C078: DD348100 00088506
	s_mov_b64 exec, s[36:37]                                   // 00000000C080: BEFE0124
	v_mov_b32_e32 v6, v58                                      // 00000000C084: 7E0C033A
	s_mov_b64 s[60:61], 0                                      // 00000000C088: BEBC0180
	v_readlane_b32 s82, v3, 16                                 // 00000000C08C: D2890052 00012103
	s_and_b32 s82, s82, 0xffffff                               // 00000000C094: 8652FF52 00FFFFFF
	s_cmp_lt_u32 s82, s66                                      // 00000000C09C: BF0A4252
	s_cselect_b32 s20, s36, s60                                // 00000000C0A0: 85143C24
	v_readlane_b32 s82, v3, 17                                 // 00000000C0A4: D2890052 00012303
	s_and_b32 s82, s82, 0xffffff                               // 00000000C0AC: 8652FF52 00FFFFFF
	s_cmp_lt_u32 s82, s66                                      // 00000000C0B4: BF0A4252
	s_cselect_b32 s21, s36, s60                                // 00000000C0B8: 85153C24
	s_mov_b64 exec, s[20:21]                                   // 00000000C0BC: BEFE0114
	global_atomic_add_f32 v6, v136, s[8:9]                     // 00000000C0C0: DD348000 00088806
	global_atomic_add_f32 v6, v140, s[8:9] offset:256          // 00000000C0C8: DD348100 00088C06
	s_mov_b64 exec, s[36:37]                                   // 00000000C0D0: BEFE0124
	v_mov_b32_e32 v6, v59                                      // 00000000C0D4: 7E0C033B
	s_mov_b64 s[60:61], 0                                      // 00000000C0D8: BEBC0180
	v_readlane_b32 s82, v3, 18                                 // 00000000C0DC: D2890052 00012503
	s_and_b32 s82, s82, 0xffffff                               // 00000000C0E4: 8652FF52 00FFFFFF
	s_cmp_lt_u32 s82, s66                                      // 00000000C0EC: BF0A4252
	s_cselect_b32 s20, s36, s60                                // 00000000C0F0: 85143C24
	v_readlane_b32 s82, v3, 19                                 // 00000000C0F4: D2890052 00012703
	s_and_b32 s82, s82, 0xffffff                               // 00000000C0FC: 8652FF52 00FFFFFF
	s_cmp_lt_u32 s82, s66                                      // 00000000C104: BF0A4252
	s_cselect_b32 s21, s36, s60                                // 00000000C108: 85153C24
	s_mov_b64 exec, s[20:21]                                   // 00000000C10C: BEFE0114
	global_atomic_add_f32 v6, v137, s[8:9]                     // 00000000C110: DD348000 00088906
	global_atomic_add_f32 v6, v141, s[8:9] offset:256          // 00000000C118: DD348100 00088D06
	s_mov_b64 exec, s[36:37]                                   // 00000000C120: BEFE0124
	ds_write_b64 v20, v[106:107]                               // 00000000C124: D89A0000 00006A14
	ds_write_b64 v20, v[110:111] offset:4352                   // 00000000C12C: D89A1100 00006E14
	ds_write_b64 v20, v[114:115] offset:8704                   // 00000000C134: D89A2200 00007214
	ds_write_b64 v20, v[118:119] offset:13056                  // 00000000C13C: D89A3300 00007614
	ds_write_b64 v20, v[122:123] offset:17408                  // 00000000C144: D89A4400 00007A14
	ds_write_b64 v20, v[126:127] offset:2176                   // 00000000C14C: D89A0880 00007E14
	ds_write_b64 v20, v[130:131] offset:6528                   // 00000000C154: D89A1980 00008214
	ds_write_b64 v20, v[134:135] offset:10880                  // 00000000C15C: D89A2A80 00008614
	ds_write_b64 v20, v[138:139] offset:15232                  // 00000000C164: D89A3B80 00008A14
	ds_write_b64 v20, v[142:143] offset:19584                  // 00000000C16C: D89A4C80 00008E14
	s_waitcnt lgkmcnt(0)                                       // 00000000C174: BF8CC07F
	s_barrier                                                  // 00000000C178: BF8A0000
	ds_read_b32 v106, v21                                      // 00000000C17C: D86C0000 6A000015
	ds_read_b32 v107, v21 offset:64                            // 00000000C184: D86C0040 6B000015
	ds_read_b32 v110, v21 offset:2176                          // 00000000C18C: D86C0880 6E000015
	ds_read_b32 v111, v21 offset:2240                          // 00000000C194: D86C08C0 6F000015
	ds_read_b32 v114, v21 offset:4352                          // 00000000C19C: D86C1100 72000015
	ds_read_b32 v115, v21 offset:4416                          // 00000000C1A4: D86C1140 73000015
	ds_read_b32 v118, v21 offset:6528                          // 00000000C1AC: D86C1980 76000015
	ds_read_b32 v119, v21 offset:6592                          // 00000000C1B4: D86C19C0 77000015
	ds_read_b32 v122, v21 offset:8704                          // 00000000C1BC: D86C2200 7A000015
	ds_read_b32 v123, v21 offset:8768                          // 00000000C1C4: D86C2240 7B000015
	ds_read_b32 v126, v21 offset:10880                         // 00000000C1CC: D86C2A80 7E000015
	ds_read_b32 v127, v21 offset:10944                         // 00000000C1D4: D86C2AC0 7F000015
	ds_read_b32 v130, v21 offset:13056                         // 00000000C1DC: D86C3300 82000015
	ds_read_b32 v131, v21 offset:13120                         // 00000000C1E4: D86C3340 83000015
	ds_read_b32 v134, v21 offset:15232                         // 00000000C1EC: D86C3B80 86000015
	ds_read_b32 v135, v21 offset:15296                         // 00000000C1F4: D86C3BC0 87000015
	ds_read_b32 v138, v21 offset:17408                         // 00000000C1FC: D86C4400 8A000015
	ds_read_b32 v139, v21 offset:17472                         // 00000000C204: D86C4440 8B000015
	ds_read_b32 v142, v21 offset:19584                         // 00000000C20C: D86C4C80 8E000015
	ds_read_b32 v143, v21 offset:19648                         // 00000000C214: D86C4CC0 8F000015
	s_waitcnt lgkmcnt(0)                                       // 00000000C21C: BF8CC07F
	v_mov_b32_e32 v7, 0                                        // 00000000C220: 7E0E0280
	s_mov_b64 exec, s[36:37]                                   // 00000000C224: BEFE0124
	v_mov_b32_e32 v6, v50                                      // 00000000C228: 7E0C0332
	s_mov_b64 s[60:61], 0                                      // 00000000C22C: BEBC0180
	v_readlane_b32 s82, v3, 0                                  // 00000000C230: D2890052 00010103
	s_and_b32 s82, s82, 0xffffff                               // 00000000C238: 8652FF52 00FFFFFF
	s_cmp_lt_u32 s82, s66                                      // 00000000C240: BF0A4252
	s_cselect_b32 s20, s36, s60                                // 00000000C244: 85143C24
	v_readlane_b32 s82, v3, 1                                  // 00000000C248: D2890052 00010303
	s_and_b32 s82, s82, 0xffffff                               // 00000000C250: 8652FF52 00FFFFFF
	s_cmp_lt_u32 s82, s66                                      // 00000000C258: BF0A4252
	s_cselect_b32 s21, s36, s60                                // 00000000C25C: 85153C24
	s_mov_b64 exec, s[20:21]                                   // 00000000C260: BEFE0114
	global_atomic_add_f32 v6, v106, s[8:9] offset:8            // 00000000C264: DD348008 00086A06
	global_atomic_add_f32 v6, v110, s[8:9] offset:264          // 00000000C26C: DD348108 00086E06
	s_mov_b64 exec, s[36:37]                                   // 00000000C274: BEFE0124
	v_mov_b32_e32 v6, v51                                      // 00000000C278: 7E0C0333
	s_mov_b64 s[60:61], 0                                      // 00000000C27C: BEBC0180
	v_readlane_b32 s82, v3, 2                                  // 00000000C280: D2890052 00010503
	s_and_b32 s82, s82, 0xffffff                               // 00000000C288: 8652FF52 00FFFFFF
	s_cmp_lt_u32 s82, s66                                      // 00000000C290: BF0A4252
	s_cselect_b32 s20, s36, s60                                // 00000000C294: 85143C24
	v_readlane_b32 s82, v3, 3                                  // 00000000C298: D2890052 00010703
	s_and_b32 s82, s82, 0xffffff                               // 00000000C2A0: 8652FF52 00FFFFFF
	s_cmp_lt_u32 s82, s66                                      // 00000000C2A8: BF0A4252
	s_cselect_b32 s21, s36, s60                                // 00000000C2AC: 85153C24
	s_mov_b64 exec, s[20:21]                                   // 00000000C2B0: BEFE0114
	global_atomic_add_f32 v6, v107, s[8:9] offset:8            // 00000000C2B4: DD348008 00086B06
	global_atomic_add_f32 v6, v111, s[8:9] offset:264          // 00000000C2BC: DD348108 00086F06
	s_mov_b64 exec, s[36:37]                                   // 00000000C2C4: BEFE0124
	v_mov_b32_e32 v6, v52                                      // 00000000C2C8: 7E0C0334
	s_mov_b64 s[60:61], 0                                      // 00000000C2CC: BEBC0180
	v_readlane_b32 s82, v3, 4                                  // 00000000C2D0: D2890052 00010903
	s_and_b32 s82, s82, 0xffffff                               // 00000000C2D8: 8652FF52 00FFFFFF
	s_cmp_lt_u32 s82, s66                                      // 00000000C2E0: BF0A4252
	s_cselect_b32 s20, s36, s60                                // 00000000C2E4: 85143C24
	v_readlane_b32 s82, v3, 5                                  // 00000000C2E8: D2890052 00010B03
	s_and_b32 s82, s82, 0xffffff                               // 00000000C2F0: 8652FF52 00FFFFFF
	s_cmp_lt_u32 s82, s66                                      // 00000000C2F8: BF0A4252
	s_cselect_b32 s21, s36, s60                                // 00000000C2FC: 85153C24
	s_mov_b64 exec, s[20:21]                                   // 00000000C300: BEFE0114
	global_atomic_add_f32 v6, v114, s[8:9] offset:8            // 00000000C304: DD348008 00087206
	global_atomic_add_f32 v6, v118, s[8:9] offset:264          // 00000000C30C: DD348108 00087606
	s_mov_b64 exec, s[36:37]                                   // 00000000C314: BEFE0124
	v_mov_b32_e32 v6, v53                                      // 00000000C318: 7E0C0335
	s_mov_b64 s[60:61], 0                                      // 00000000C31C: BEBC0180
	v_readlane_b32 s82, v3, 6                                  // 00000000C320: D2890052 00010D03
	s_and_b32 s82, s82, 0xffffff                               // 00000000C328: 8652FF52 00FFFFFF
	s_cmp_lt_u32 s82, s66                                      // 00000000C330: BF0A4252
	s_cselect_b32 s20, s36, s60                                // 00000000C334: 85143C24
	v_readlane_b32 s82, v3, 7                                  // 00000000C338: D2890052 00010F03
	s_and_b32 s82, s82, 0xffffff                               // 00000000C340: 8652FF52 00FFFFFF
	s_cmp_lt_u32 s82, s66                                      // 00000000C348: BF0A4252
	s_cselect_b32 s21, s36, s60                                // 00000000C34C: 85153C24
	s_mov_b64 exec, s[20:21]                                   // 00000000C350: BEFE0114
	global_atomic_add_f32 v6, v115, s[8:9] offset:8            // 00000000C354: DD348008 00087306
	global_atomic_add_f32 v6, v119, s[8:9] offset:264          // 00000000C35C: DD348108 00087706
	s_mov_b64 exec, s[36:37]                                   // 00000000C364: BEFE0124
	v_mov_b32_e32 v6, v54                                      // 00000000C368: 7E0C0336
	s_mov_b64 s[60:61], 0                                      // 00000000C36C: BEBC0180
	v_readlane_b32 s82, v3, 8                                  // 00000000C370: D2890052 00011103
	s_and_b32 s82, s82, 0xffffff                               // 00000000C378: 8652FF52 00FFFFFF
	s_cmp_lt_u32 s82, s66                                      // 00000000C380: BF0A4252
	s_cselect_b32 s20, s36, s60                                // 00000000C384: 85143C24
	v_readlane_b32 s82, v3, 9                                  // 00000000C388: D2890052 00011303
	s_and_b32 s82, s82, 0xffffff                               // 00000000C390: 8652FF52 00FFFFFF
	s_cmp_lt_u32 s82, s66                                      // 00000000C398: BF0A4252
	s_cselect_b32 s21, s36, s60                                // 00000000C39C: 85153C24
	s_mov_b64 exec, s[20:21]                                   // 00000000C3A0: BEFE0114
	global_atomic_add_f32 v6, v122, s[8:9] offset:8            // 00000000C3A4: DD348008 00087A06
	global_atomic_add_f32 v6, v126, s[8:9] offset:264          // 00000000C3AC: DD348108 00087E06
	s_mov_b64 exec, s[36:37]                                   // 00000000C3B4: BEFE0124
	v_mov_b32_e32 v6, v55                                      // 00000000C3B8: 7E0C0337
	s_mov_b64 s[60:61], 0                                      // 00000000C3BC: BEBC0180
	v_readlane_b32 s82, v3, 10                                 // 00000000C3C0: D2890052 00011503
	s_and_b32 s82, s82, 0xffffff                               // 00000000C3C8: 8652FF52 00FFFFFF
	s_cmp_lt_u32 s82, s66                                      // 00000000C3D0: BF0A4252
	s_cselect_b32 s20, s36, s60                                // 00000000C3D4: 85143C24
	v_readlane_b32 s82, v3, 11                                 // 00000000C3D8: D2890052 00011703
	s_and_b32 s82, s82, 0xffffff                               // 00000000C3E0: 8652FF52 00FFFFFF
	s_cmp_lt_u32 s82, s66                                      // 00000000C3E8: BF0A4252
	s_cselect_b32 s21, s36, s60                                // 00000000C3EC: 85153C24
	s_mov_b64 exec, s[20:21]                                   // 00000000C3F0: BEFE0114
	global_atomic_add_f32 v6, v123, s[8:9] offset:8            // 00000000C3F4: DD348008 00087B06
	global_atomic_add_f32 v6, v127, s[8:9] offset:264          // 00000000C3FC: DD348108 00087F06
	s_mov_b64 exec, s[36:37]                                   // 00000000C404: BEFE0124
	v_mov_b32_e32 v6, v56                                      // 00000000C408: 7E0C0338
	s_mov_b64 s[60:61], 0                                      // 00000000C40C: BEBC0180
	v_readlane_b32 s82, v3, 12                                 // 00000000C410: D2890052 00011903
	s_and_b32 s82, s82, 0xffffff                               // 00000000C418: 8652FF52 00FFFFFF
	s_cmp_lt_u32 s82, s66                                      // 00000000C420: BF0A4252
	s_cselect_b32 s20, s36, s60                                // 00000000C424: 85143C24
	v_readlane_b32 s82, v3, 13                                 // 00000000C428: D2890052 00011B03
	s_and_b32 s82, s82, 0xffffff                               // 00000000C430: 8652FF52 00FFFFFF
	s_cmp_lt_u32 s82, s66                                      // 00000000C438: BF0A4252
	s_cselect_b32 s21, s36, s60                                // 00000000C43C: 85153C24
	s_mov_b64 exec, s[20:21]                                   // 00000000C440: BEFE0114
	global_atomic_add_f32 v6, v130, s[8:9] offset:8            // 00000000C444: DD348008 00088206
	global_atomic_add_f32 v6, v134, s[8:9] offset:264          // 00000000C44C: DD348108 00088606
	s_mov_b64 exec, s[36:37]                                   // 00000000C454: BEFE0124
	v_mov_b32_e32 v6, v57                                      // 00000000C458: 7E0C0339
	s_mov_b64 s[60:61], 0                                      // 00000000C45C: BEBC0180
	v_readlane_b32 s82, v3, 14                                 // 00000000C460: D2890052 00011D03
	s_and_b32 s82, s82, 0xffffff                               // 00000000C468: 8652FF52 00FFFFFF
	s_cmp_lt_u32 s82, s66                                      // 00000000C470: BF0A4252
	s_cselect_b32 s20, s36, s60                                // 00000000C474: 85143C24
	v_readlane_b32 s82, v3, 15                                 // 00000000C478: D2890052 00011F03
	s_and_b32 s82, s82, 0xffffff                               // 00000000C480: 8652FF52 00FFFFFF
	s_cmp_lt_u32 s82, s66                                      // 00000000C488: BF0A4252
	s_cselect_b32 s21, s36, s60                                // 00000000C48C: 85153C24
	s_mov_b64 exec, s[20:21]                                   // 00000000C490: BEFE0114
	global_atomic_add_f32 v6, v131, s[8:9] offset:8            // 00000000C494: DD348008 00088306
	global_atomic_add_f32 v6, v135, s[8:9] offset:264          // 00000000C49C: DD348108 00088706
	s_mov_b64 exec, s[36:37]                                   // 00000000C4A4: BEFE0124
	v_mov_b32_e32 v6, v58                                      // 00000000C4A8: 7E0C033A
	s_mov_b64 s[60:61], 0                                      // 00000000C4AC: BEBC0180
	v_readlane_b32 s82, v3, 16                                 // 00000000C4B0: D2890052 00012103
	s_and_b32 s82, s82, 0xffffff                               // 00000000C4B8: 8652FF52 00FFFFFF
	s_cmp_lt_u32 s82, s66                                      // 00000000C4C0: BF0A4252
	s_cselect_b32 s20, s36, s60                                // 00000000C4C4: 85143C24
	v_readlane_b32 s82, v3, 17                                 // 00000000C4C8: D2890052 00012303
	s_and_b32 s82, s82, 0xffffff                               // 00000000C4D0: 8652FF52 00FFFFFF
	s_cmp_lt_u32 s82, s66                                      // 00000000C4D8: BF0A4252
	s_cselect_b32 s21, s36, s60                                // 00000000C4DC: 85153C24
	s_mov_b64 exec, s[20:21]                                   // 00000000C4E0: BEFE0114
	global_atomic_add_f32 v6, v138, s[8:9] offset:8            // 00000000C4E4: DD348008 00088A06
	global_atomic_add_f32 v6, v142, s[8:9] offset:264          // 00000000C4EC: DD348108 00088E06
	s_mov_b64 exec, s[36:37]                                   // 00000000C4F4: BEFE0124
	v_mov_b32_e32 v6, v59                                      // 00000000C4F8: 7E0C033B
	s_mov_b64 s[60:61], 0                                      // 00000000C4FC: BEBC0180
	v_readlane_b32 s82, v3, 18                                 // 00000000C500: D2890052 00012503
	s_and_b32 s82, s82, 0xffffff                               // 00000000C508: 8652FF52 00FFFFFF
	s_cmp_lt_u32 s82, s66                                      // 00000000C510: BF0A4252
	s_cselect_b32 s20, s36, s60                                // 00000000C514: 85143C24
	v_readlane_b32 s82, v3, 19                                 // 00000000C518: D2890052 00012703
	s_and_b32 s82, s82, 0xffffff                               // 00000000C520: 8652FF52 00FFFFFF
	s_cmp_lt_u32 s82, s66                                      // 00000000C528: BF0A4252
	s_cselect_b32 s21, s36, s60                                // 00000000C52C: 85153C24
	s_mov_b64 exec, s[20:21]                                   // 00000000C530: BEFE0114
	global_atomic_add_f32 v6, v139, s[8:9] offset:8            // 00000000C534: DD348008 00088B06
	global_atomic_add_f32 v6, v143, s[8:9] offset:264          // 00000000C53C: DD348108 00088F06
	s_mov_b64 exec, s[36:37]                                   // 00000000C544: BEFE0124
	s_branch label_26D6                                        // 00000000C548: BF820000

000000000000c54c <label_26D6>:
	s_waitcnt vmcnt(0) expcnt(0) lgkmcnt(0)                    // 00000000C54C: BF8C0000
	s_endpgm                                                   // 00000000C550: BF810000
